;; amdgpu-corpus repo=ROCm/rocFFT kind=compiled arch=gfx1030 opt=O3
	.text
	.amdgcn_target "amdgcn-amd-amdhsa--gfx1030"
	.amdhsa_code_object_version 6
	.protected	bluestein_single_fwd_len585_dim1_dp_op_CI_CI ; -- Begin function bluestein_single_fwd_len585_dim1_dp_op_CI_CI
	.globl	bluestein_single_fwd_len585_dim1_dp_op_CI_CI
	.p2align	8
	.type	bluestein_single_fwd_len585_dim1_dp_op_CI_CI,@function
bluestein_single_fwd_len585_dim1_dp_op_CI_CI: ; @bluestein_single_fwd_len585_dim1_dp_op_CI_CI
; %bb.0:
	s_load_dwordx4 s[0:3], s[4:5], 0x28
	v_mul_u32_u24_e32 v1, 0x3f1, v0
	v_lshrrev_b32_e32 v1, 16, v1
	v_mad_u64_u32 v[136:137], null, s6, 3, v[1:2]
	v_mov_b32_e32 v137, 0
	s_waitcnt lgkmcnt(0)
	v_cmp_gt_u64_e32 vcc_lo, s[0:1], v[136:137]
	s_and_saveexec_b32 s0, vcc_lo
	s_cbranch_execz .LBB0_23
; %bb.1:
	v_mul_hi_u32 v2, 0xaaaaaaab, v136
	s_clause 0x1
	s_load_dwordx2 s[14:15], s[4:5], 0x0
	s_load_dwordx2 s[12:13], s[4:5], 0x38
	v_mul_lo_u16 v1, 0x41, v1
	v_sub_nc_u16 v0, v0, v1
	v_lshrrev_b32_e32 v2, 1, v2
	v_and_b32_e32 v221, 0xffff, v0
	v_lshl_add_u32 v2, v2, 1, v2
	v_cmp_gt_u16_e32 vcc_lo, 45, v0
	v_lshlrev_b32_e32 v222, 4, v221
	v_sub_nc_u32_e32 v1, v136, v2
	v_mul_u32_u24_e32 v224, 0x249, v1
	v_lshlrev_b32_e32 v223, 4, v224
	s_and_saveexec_b32 s1, vcc_lo
	s_cbranch_execz .LBB0_3
; %bb.2:
	s_load_dwordx2 s[6:7], s[4:5], 0x18
	s_waitcnt lgkmcnt(0)
	v_add_co_u32 v14, s0, s14, v222
	v_add_co_ci_u32_e64 v15, null, s15, 0, s0
	global_load_dwordx4 v[0:3], v222, s[14:15]
	v_add_co_u32 v22, s0, 0x800, v14
	v_add_co_ci_u32_e64 v23, s0, 0, v15, s0
	v_add_co_u32 v32, s0, 0x1000, v14
	v_add_co_ci_u32_e64 v33, s0, 0, v15, s0
	;; [unrolled: 2-line block ×3, first 2 shown]
	v_add_co_u32 v96, s0, 0x2000, v14
	s_load_dwordx4 s[8:11], s[6:7], 0x0
	v_add_co_ci_u32_e64 v97, s0, 0, v15, s0
	s_clause 0x1
	global_load_dwordx4 v[4:7], v222, s[14:15] offset:720
	global_load_dwordx4 v[8:11], v222, s[14:15] offset:1440
	s_waitcnt lgkmcnt(0)
	v_mad_u64_u32 v[20:21], null, s10, v136, 0
	v_mad_u64_u32 v[24:25], null, s8, v221, 0
	s_mul_i32 s6, s9, 0x2d0
	s_mul_hi_u32 s7, s8, 0x2d0
	s_add_i32 s7, s7, s6
	v_mov_b32_e32 v12, v21
	v_mad_u64_u32 v[12:13], null, s11, v136, v[12:13]
	v_mov_b32_e32 v13, v25
	v_mad_u64_u32 v[25:26], null, s9, v221, v[13:14]
	v_mov_b32_e32 v21, v12
	s_clause 0x1
	global_load_dwordx4 v[12:15], v[22:23], off offset:112
	global_load_dwordx4 v[16:19], v[22:23], off offset:832
	v_lshlrev_b64 v[26:27], 4, v[20:21]
	v_lshlrev_b64 v[24:25], 4, v[24:25]
	global_load_dwordx4 v[20:23], v[22:23], off offset:1552
	v_add_co_u32 v26, s0, s2, v26
	v_add_co_ci_u32_e64 v27, s0, s3, v27, s0
	s_mul_i32 s2, s8, 0x2d0
	v_add_co_u32 v44, s0, v26, v24
	v_add_co_ci_u32_e64 v45, s0, v27, v25, s0
	s_clause 0x1
	global_load_dwordx4 v[24:27], v[32:33], off offset:224
	global_load_dwordx4 v[28:31], v[32:33], off offset:944
	v_add_co_u32 v48, s0, v44, s2
	v_add_co_ci_u32_e64 v49, s0, s7, v45, s0
	global_load_dwordx4 v[32:35], v[32:33], off offset:1664
	v_add_co_u32 v52, s0, v48, s2
	v_add_co_ci_u32_e64 v53, s0, s7, v49, s0
	s_clause 0x1
	global_load_dwordx4 v[36:39], v[88:89], off offset:336
	global_load_dwordx4 v[40:43], v[88:89], off offset:1056
	v_add_co_u32 v56, s0, v52, s2
	v_add_co_ci_u32_e64 v57, s0, s7, v53, s0
	s_clause 0x1
	global_load_dwordx4 v[44:47], v[44:45], off
	global_load_dwordx4 v[48:51], v[48:49], off
	v_add_co_u32 v60, s0, v56, s2
	v_add_co_ci_u32_e64 v61, s0, s7, v57, s0
	s_clause 0x1
	global_load_dwordx4 v[52:55], v[52:53], off
	global_load_dwordx4 v[56:59], v[56:57], off
	v_add_co_u32 v64, s0, v60, s2
	v_add_co_ci_u32_e64 v65, s0, s7, v61, s0
	global_load_dwordx4 v[60:63], v[60:61], off
	v_add_co_u32 v68, s0, v64, s2
	v_add_co_ci_u32_e64 v69, s0, s7, v65, s0
	;; [unrolled: 3-line block ×7, first 2 shown]
	v_add_co_u32 v100, s0, v92, s2
	v_add_co_ci_u32_e64 v101, s0, s7, v93, s0
	global_load_dwordx4 v[84:87], v[84:85], off
	global_load_dwordx4 v[88:91], v[88:89], off offset:1776
	global_load_dwordx4 v[92:95], v[92:93], off
	global_load_dwordx4 v[96:99], v[96:97], off offset:448
	global_load_dwordx4 v[100:103], v[100:101], off
	s_waitcnt vmcnt(14)
	v_mul_f64 v[104:105], v[46:47], v[2:3]
	v_mul_f64 v[2:3], v[44:45], v[2:3]
	s_waitcnt vmcnt(13)
	v_mul_f64 v[106:107], v[50:51], v[6:7]
	v_mul_f64 v[6:7], v[48:49], v[6:7]
	;; [unrolled: 3-line block ×5, first 2 shown]
	v_fma_f64 v[44:45], v[44:45], v[0:1], v[104:105]
	s_waitcnt vmcnt(9)
	v_mul_f64 v[104:105], v[66:67], v[22:23]
	v_mul_f64 v[22:23], v[64:65], v[22:23]
	v_fma_f64 v[46:47], v[46:47], v[0:1], -v[2:3]
	v_fma_f64 v[0:1], v[48:49], v[4:5], v[106:107]
	s_waitcnt vmcnt(8)
	v_mul_f64 v[48:49], v[70:71], v[26:27]
	v_mul_f64 v[26:27], v[68:69], v[26:27]
	v_fma_f64 v[2:3], v[50:51], v[4:5], -v[6:7]
	s_waitcnt vmcnt(7)
	v_mul_f64 v[50:51], v[74:75], v[30:31]
	v_mul_f64 v[30:31], v[72:73], v[30:31]
	s_waitcnt vmcnt(6)
	v_mul_f64 v[106:107], v[78:79], v[34:35]
	v_mul_f64 v[34:35], v[76:77], v[34:35]
	v_fma_f64 v[4:5], v[52:53], v[8:9], v[108:109]
	v_fma_f64 v[6:7], v[54:55], v[8:9], -v[10:11]
	s_waitcnt vmcnt(5)
	v_mul_f64 v[114:115], v[82:83], v[38:39]
	v_mul_f64 v[38:39], v[80:81], v[38:39]
	v_fma_f64 v[8:9], v[56:57], v[12:13], v[110:111]
	v_fma_f64 v[10:11], v[58:59], v[12:13], -v[14:15]
	v_fma_f64 v[12:13], v[60:61], v[16:17], v[112:113]
	v_fma_f64 v[14:15], v[62:63], v[16:17], -v[18:19]
	s_waitcnt vmcnt(4)
	v_mul_f64 v[116:117], v[86:87], v[42:43]
	v_mul_f64 v[42:43], v[84:85], v[42:43]
	s_waitcnt vmcnt(2)
	v_mul_f64 v[118:119], v[94:95], v[90:91]
	v_mul_f64 v[90:91], v[92:93], v[90:91]
	;; [unrolled: 3-line block ×3, first 2 shown]
	v_fma_f64 v[16:17], v[64:65], v[20:21], v[104:105]
	v_fma_f64 v[18:19], v[66:67], v[20:21], -v[22:23]
	v_fma_f64 v[20:21], v[68:69], v[24:25], v[48:49]
	v_fma_f64 v[22:23], v[70:71], v[24:25], -v[26:27]
	;; [unrolled: 2-line block ×4, first 2 shown]
	v_lshl_add_u32 v52, v221, 4, v223
	v_add_nc_u32_e32 v53, v223, v222
	v_fma_f64 v[32:33], v[80:81], v[36:37], v[114:115]
	v_fma_f64 v[34:35], v[82:83], v[36:37], -v[38:39]
	v_fma_f64 v[36:37], v[84:85], v[40:41], v[116:117]
	v_fma_f64 v[38:39], v[86:87], v[40:41], -v[42:43]
	;; [unrolled: 2-line block ×4, first 2 shown]
	ds_write_b128 v52, v[44:47]
	ds_write_b128 v53, v[0:3] offset:720
	ds_write_b128 v53, v[4:7] offset:1440
	;; [unrolled: 1-line block ×12, first 2 shown]
.LBB0_3:
	s_or_b32 exec_lo, exec_lo, s1
	s_waitcnt lgkmcnt(0)
	s_barrier
	buffer_gl0_inv
                                        ; implicit-def: $vgpr12_vgpr13
                                        ; implicit-def: $vgpr36_vgpr37
                                        ; implicit-def: $vgpr44_vgpr45
                                        ; implicit-def: $vgpr52_vgpr53
                                        ; implicit-def: $vgpr60_vgpr61
                                        ; implicit-def: $vgpr56_vgpr57
                                        ; implicit-def: $vgpr48_vgpr49
                                        ; implicit-def: $vgpr40_vgpr41
                                        ; implicit-def: $vgpr32_vgpr33
                                        ; implicit-def: $vgpr28_vgpr29
                                        ; implicit-def: $vgpr24_vgpr25
                                        ; implicit-def: $vgpr16_vgpr17
                                        ; implicit-def: $vgpr20_vgpr21
	s_and_saveexec_b32 s0, vcc_lo
	s_cbranch_execz .LBB0_5
; %bb.4:
	v_lshl_add_u32 v0, v224, 4, v222
	ds_read_b128 v[12:15], v0
	ds_read_b128 v[36:39], v0 offset:720
	ds_read_b128 v[44:47], v0 offset:1440
	;; [unrolled: 1-line block ×12, first 2 shown]
.LBB0_5:
	s_or_b32 exec_lo, exec_lo, s0
	s_waitcnt lgkmcnt(0)
	v_add_f64 v[78:79], v[38:39], -v[22:23]
	v_add_f64 v[76:77], v[36:37], -v[20:21]
	s_mov_b32 s3, 0xbfddbe06
	s_mov_b32 s2, 0x4267c47c
	v_add_f64 v[84:85], v[36:37], v[20:21]
	v_add_f64 v[86:87], v[38:39], v[22:23]
	v_add_f64 v[82:83], v[46:47], -v[18:19]
	v_add_f64 v[80:81], v[44:45], -v[16:17]
	s_mov_b32 s20, 0x42a4c3d2
	s_mov_b32 s6, 0xe00740e9
	;; [unrolled: 1-line block ×4, first 2 shown]
	v_add_f64 v[116:117], v[44:45], v[16:17]
	v_add_f64 v[118:119], v[46:47], v[18:19]
	v_add_f64 v[207:208], v[54:55], -v[26:27]
	v_add_f64 v[205:206], v[52:53], -v[24:25]
	s_mov_b32 s0, 0x1ea71119
	s_mov_b32 s22, 0x2ef20147
	;; [unrolled: 1-line block ×6, first 2 shown]
	v_mul_f64 v[88:89], v[78:79], s[2:3]
	v_mul_f64 v[90:91], v[76:77], s[2:3]
	;; [unrolled: 1-line block ×4, first 2 shown]
	v_add_f64 v[130:131], v[52:53], v[24:25]
	v_add_f64 v[132:133], v[54:55], v[26:27]
	v_mul_f64 v[96:97], v[82:83], s[20:21]
	v_mul_f64 v[98:99], v[80:81], s[20:21]
	;; [unrolled: 1-line block ×4, first 2 shown]
	v_add_f64 v[209:210], v[60:61], -v[28:29]
	v_add_f64 v[211:212], v[62:63], -v[30:31]
	s_mov_b32 s8, 0xebaa3ed8
	s_mov_b32 s18, 0xb2365da1
	v_mul_f64 v[100:101], v[207:208], s[30:31]
	v_mul_f64 v[104:105], v[205:206], s[30:31]
	s_mov_b32 s24, 0x4bc48dbf
	s_mov_b32 s9, 0x3fbedb7d
	;; [unrolled: 1-line block ×4, first 2 shown]
	v_add_f64 v[141:142], v[60:61], v[28:29]
	v_mul_f64 v[108:109], v[207:208], s[24:25]
	v_fma_f64 v[0:1], v[84:85], s[6:7], v[88:89]
	v_fma_f64 v[2:3], v[86:87], s[6:7], -v[90:91]
	v_fma_f64 v[4:5], v[84:85], s[0:1], v[92:93]
	v_fma_f64 v[6:7], v[86:87], s[0:1], -v[94:95]
	v_mul_f64 v[110:111], v[205:206], s[24:25]
	v_add_f64 v[143:144], v[62:63], v[30:31]
	v_fma_f64 v[8:9], v[116:117], s[0:1], v[96:97]
	v_fma_f64 v[10:11], v[118:119], s[0:1], -v[98:99]
	v_fma_f64 v[64:65], v[116:117], s[18:19], v[102:103]
	v_fma_f64 v[66:67], v[118:119], s[18:19], -v[106:107]
	v_add_f64 v[213:214], v[56:57], -v[32:33]
	v_add_f64 v[215:216], v[58:59], -v[34:35]
	v_mul_f64 v[112:113], v[211:212], s[22:23]
	v_mul_f64 v[114:115], v[209:210], s[22:23]
	v_fma_f64 v[68:69], v[130:131], s[8:9], v[100:101]
	v_fma_f64 v[70:71], v[132:133], s[8:9], -v[104:105]
	s_mov_b32 s26, 0x24c2f84
	s_mov_b32 s10, 0x93053d00
	s_mov_b32 s27, 0xbfe5384d
	s_mov_b32 s11, 0xbfef11f4
	s_mov_b32 s35, 0x3fe5384d
	s_mov_b32 s34, s26
	v_add_f64 v[0:1], v[12:13], v[0:1]
	v_add_f64 v[2:3], v[14:15], v[2:3]
	;; [unrolled: 1-line block ×4, first 2 shown]
	v_mul_f64 v[120:121], v[211:212], s[34:35]
	v_mul_f64 v[122:123], v[209:210], s[34:35]
	v_add_f64 v[145:146], v[56:57], v[32:33]
	v_add_f64 v[147:148], v[58:59], v[34:35]
	v_add_f64 v[219:220], v[50:51], -v[42:43]
	s_mov_b32 s16, 0xd0032e0c
	v_mul_f64 v[126:127], v[213:214], s[26:27]
	v_mul_f64 v[124:125], v[215:216], s[26:27]
	s_mov_b32 s17, 0xbfe7f3cc
	s_mov_b32 s29, 0x3fefc445
	;; [unrolled: 1-line block ×3, first 2 shown]
	v_mul_f64 v[157:158], v[78:79], s[30:31]
	v_mul_f64 v[128:129], v[215:216], s[28:29]
	v_add_f64 v[151:152], v[48:49], v[40:41]
	v_mul_f64 v[165:166], v[76:77], s[30:31]
	s_mov_b32 s3, 0x3fddbe06
	v_mul_f64 v[159:160], v[82:83], s[24:25]
	v_mul_f64 v[177:178], v[80:81], s[24:25]
	v_add_f64 v[0:1], v[8:9], v[0:1]
	v_add_f64 v[2:3], v[10:11], v[2:3]
	v_fma_f64 v[8:9], v[130:131], s[10:11], v[108:109]
	v_add_f64 v[4:5], v[64:65], v[4:5]
	v_fma_f64 v[10:11], v[132:133], s[10:11], -v[110:111]
	v_add_f64 v[6:7], v[66:67], v[6:7]
	v_fma_f64 v[64:65], v[141:142], s[18:19], v[112:113]
	v_fma_f64 v[66:67], v[143:144], s[18:19], -v[114:115]
	v_mul_f64 v[137:138], v[219:220], s[24:25]
	v_mul_f64 v[149:150], v[219:220], s[2:3]
	s_mov_b32 s37, 0x3fedeba7
	s_mov_b32 s36, s22
	v_mul_f64 v[173:174], v[211:212], s[2:3]
	v_mul_f64 v[171:172], v[207:208], s[36:37]
	;; [unrolled: 1-line block ×6, first 2 shown]
	v_add_f64 v[217:218], v[48:49], -v[40:41]
	v_mul_f64 v[161:162], v[219:220], s[26:27]
	v_add_f64 v[153:154], v[50:51], v[42:43]
	v_mul_f64 v[187:188], v[78:79], s[22:23]
	v_add_f64 v[0:1], v[68:69], v[0:1]
	v_add_f64 v[2:3], v[70:71], v[2:3]
	v_fma_f64 v[68:69], v[141:142], s[16:17], v[120:121]
	v_add_f64 v[4:5], v[8:9], v[4:5]
	v_fma_f64 v[8:9], v[143:144], s[16:17], -v[122:123]
	v_add_f64 v[6:7], v[10:11], v[6:7]
	v_fma_f64 v[10:11], v[145:146], s[16:17], v[124:125]
	v_fma_f64 v[70:71], v[147:148], s[16:17], -v[126:127]
	v_mul_f64 v[134:135], v[213:214], s[28:29]
	v_mul_f64 v[181:182], v[82:83], s[34:35]
	;; [unrolled: 1-line block ×8, first 2 shown]
	s_mov_b32 s35, 0x3fcea1e5
	s_mov_b32 s34, s24
	v_mul_f64 v[163:164], v[217:218], s[26:27]
	v_mul_f64 v[155:156], v[217:218], s[2:3]
	;; [unrolled: 1-line block ×4, first 2 shown]
	v_add_f64 v[0:1], v[64:65], v[0:1]
	v_add_f64 v[2:3], v[66:67], v[2:3]
	v_fma_f64 v[64:65], v[145:146], s[8:9], v[128:129]
	v_fma_f64 v[66:67], v[84:85], s[8:9], v[157:158]
	v_add_f64 v[4:5], v[68:69], v[4:5]
	v_add_f64 v[6:7], v[8:9], v[6:7]
	v_fma_f64 v[8:9], v[151:152], s[10:11], v[137:138]
	s_mov_b32 s31, 0x3fea55e2
	v_fma_f64 v[68:69], v[147:148], s[8:9], -v[134:135]
	s_mov_b32 s30, s20
	v_mul_f64 v[139:140], v[217:218], s[24:25]
	v_mul_f64 v[183:184], v[219:220], s[30:31]
	v_mul_f64 v[185:186], v[217:218], s[30:31]
	v_mul_f64 v[74:75], v[82:83], s[28:29]
	v_mul_f64 v[225:226], v[76:77], s[26:27]
	v_mul_f64 v[227:228], v[80:81], s[28:29]
	v_mul_f64 v[82:83], v[82:83], s[2:3]
	v_mul_f64 v[80:81], v[80:81], s[2:3]
	v_add_f64 v[0:1], v[10:11], v[0:1]
	v_add_f64 v[2:3], v[70:71], v[2:3]
	v_fma_f64 v[70:71], v[86:87], s[8:9], -v[165:166]
	v_fma_f64 v[10:11], v[116:117], s[10:11], v[159:160]
	v_add_f64 v[66:67], v[12:13], v[66:67]
	v_add_f64 v[4:5], v[64:65], v[4:5]
	v_fma_f64 v[64:65], v[151:152], s[6:7], v[149:150]
	v_add_f64 v[6:7], v[68:69], v[6:7]
	v_fma_f64 v[68:69], v[153:154], s[6:7], -v[155:156]
	v_fma_f64 v[72:73], v[153:154], s[10:11], -v[139:140]
	v_fma_f64 v[229:230], v[118:119], s[8:9], v[227:228]
	v_add_f64 v[0:1], v[8:9], v[0:1]
	v_fma_f64 v[8:9], v[118:119], s[10:11], -v[177:178]
	v_add_f64 v[70:71], v[14:15], v[70:71]
	v_add_f64 v[10:11], v[10:11], v[66:67]
	v_fma_f64 v[66:67], v[130:131], s[18:19], v[171:172]
	v_add_f64 v[4:5], v[64:65], v[4:5]
	v_fma_f64 v[64:65], v[132:133], s[18:19], -v[179:180]
	v_add_f64 v[6:7], v[68:69], v[6:7]
	v_fma_f64 v[68:69], v[118:119], s[16:17], -v[201:202]
	v_add_f64 v[2:3], v[72:73], v[2:3]
	v_mul_f64 v[72:73], v[78:79], s[26:27]
	v_add_f64 v[8:9], v[8:9], v[70:71]
	v_add_f64 v[10:11], v[66:67], v[10:11]
	v_fma_f64 v[66:67], v[141:142], s[6:7], v[173:174]
	v_add_f64 v[8:9], v[64:65], v[8:9]
	v_fma_f64 v[64:65], v[143:144], s[6:7], -v[175:176]
	v_add_f64 v[10:11], v[66:67], v[10:11]
	v_fma_f64 v[66:67], v[116:117], s[16:17], v[181:182]
	v_add_f64 v[8:9], v[64:65], v[8:9]
	v_fma_f64 v[64:65], v[145:146], s[0:1], v[167:168]
	v_add_f64 v[10:11], v[64:65], v[10:11]
	v_fma_f64 v[64:65], v[147:148], s[0:1], -v[169:170]
	v_add_f64 v[64:65], v[64:65], v[8:9]
	v_fma_f64 v[8:9], v[151:152], s[16:17], v[161:162]
	v_add_f64 v[8:9], v[8:9], v[10:11]
	v_fma_f64 v[10:11], v[153:154], s[16:17], -v[163:164]
	v_add_f64 v[10:11], v[10:11], v[64:65]
	v_fma_f64 v[64:65], v[84:85], s[18:19], v[187:188]
	v_add_f64 v[64:65], v[12:13], v[64:65]
	v_add_f64 v[64:65], v[66:67], v[64:65]
	v_fma_f64 v[66:67], v[86:87], s[18:19], -v[193:194]
	v_add_f64 v[66:67], v[14:15], v[66:67]
	v_add_f64 v[66:67], v[68:69], v[66:67]
	v_fma_f64 v[68:69], v[130:131], s[6:7], v[199:200]
	v_add_f64 v[64:65], v[68:69], v[64:65]
	v_fma_f64 v[68:69], v[132:133], s[6:7], -v[203:204]
	v_add_f64 v[66:67], v[68:69], v[66:67]
	v_fma_f64 v[68:69], v[141:142], s[8:9], v[195:196]
	v_add_f64 v[64:65], v[68:69], v[64:65]
	v_fma_f64 v[68:69], v[143:144], s[8:9], -v[197:198]
	v_add_f64 v[66:67], v[68:69], v[66:67]
	v_fma_f64 v[68:69], v[145:146], s[10:11], v[189:190]
	v_add_f64 v[64:65], v[68:69], v[64:65]
	v_fma_f64 v[68:69], v[147:148], s[10:11], -v[191:192]
	v_add_f64 v[66:67], v[68:69], v[66:67]
	v_fma_f64 v[68:69], v[151:152], s[0:1], v[183:184]
	v_add_f64 v[68:69], v[68:69], v[64:65]
	v_fma_f64 v[64:65], v[153:154], s[0:1], -v[185:186]
	v_add_f64 v[70:71], v[64:65], v[66:67]
	v_fma_f64 v[64:65], v[84:85], s[16:17], -v[72:73]
	v_fma_f64 v[66:67], v[116:117], s[8:9], -v[74:75]
	v_fma_f64 v[72:73], v[84:85], s[16:17], v[72:73]
	v_fma_f64 v[74:75], v[116:117], s[8:9], v[74:75]
	v_add_f64 v[64:65], v[12:13], v[64:65]
	v_add_f64 v[72:73], v[12:13], v[72:73]
	;; [unrolled: 1-line block ×3, first 2 shown]
	v_fma_f64 v[66:67], v[86:87], s[16:17], v[225:226]
	v_add_f64 v[72:73], v[74:75], v[72:73]
	v_fma_f64 v[74:75], v[86:87], s[16:17], -v[225:226]
	v_fma_f64 v[225:226], v[118:119], s[8:9], -v[227:228]
	v_add_f64 v[66:67], v[14:15], v[66:67]
	v_add_f64 v[74:75], v[14:15], v[74:75]
	;; [unrolled: 1-line block ×3, first 2 shown]
	v_mul_f64 v[229:230], v[207:208], s[20:21]
	v_add_f64 v[74:75], v[225:226], v[74:75]
	v_mul_f64 v[207:208], v[207:208], s[26:27]
	v_fma_f64 v[231:232], v[130:131], s[0:1], -v[229:230]
	v_fma_f64 v[225:226], v[130:131], s[0:1], v[229:230]
	v_fma_f64 v[229:230], v[118:119], s[6:7], v[80:81]
	v_fma_f64 v[80:81], v[118:119], s[6:7], -v[80:81]
	v_add_f64 v[64:65], v[231:232], v[64:65]
	v_mul_f64 v[231:232], v[205:206], s[20:21]
	v_add_f64 v[72:73], v[225:226], v[72:73]
	v_mul_f64 v[205:206], v[205:206], s[26:27]
	v_fma_f64 v[233:234], v[132:133], s[0:1], v[231:232]
	v_fma_f64 v[225:226], v[132:133], s[0:1], -v[231:232]
	v_add_f64 v[66:67], v[233:234], v[66:67]
	v_mul_f64 v[233:234], v[211:212], s[34:35]
	v_add_f64 v[74:75], v[225:226], v[74:75]
	v_mul_f64 v[211:212], v[211:212], s[30:31]
	v_fma_f64 v[235:236], v[141:142], s[10:11], -v[233:234]
	v_fma_f64 v[225:226], v[141:142], s[10:11], v[233:234]
	v_add_f64 v[64:65], v[235:236], v[64:65]
	v_mul_f64 v[235:236], v[209:210], s[34:35]
	v_add_f64 v[72:73], v[225:226], v[72:73]
	v_mul_f64 v[209:210], v[209:210], s[30:31]
	v_fma_f64 v[237:238], v[143:144], s[10:11], v[235:236]
	v_fma_f64 v[225:226], v[143:144], s[10:11], -v[235:236]
	v_add_f64 v[66:67], v[237:238], v[66:67]
	v_mul_f64 v[237:238], v[215:216], s[2:3]
	v_add_f64 v[74:75], v[225:226], v[74:75]
	v_mul_f64 v[215:216], v[215:216], s[22:23]
	v_fma_f64 v[239:240], v[145:146], s[6:7], -v[237:238]
	v_fma_f64 v[225:226], v[145:146], s[6:7], v[237:238]
	v_add_f64 v[64:65], v[239:240], v[64:65]
	v_mul_f64 v[239:240], v[213:214], s[2:3]
	v_add_f64 v[72:73], v[225:226], v[72:73]
	v_mul_f64 v[213:214], v[213:214], s[22:23]
	s_clause 0x1
	s_load_dwordx2 s[20:21], s[4:5], 0x20
	s_load_dwordx2 s[2:3], s[4:5], 0x8
	s_waitcnt lgkmcnt(0)
	s_barrier
	buffer_gl0_inv
	v_fma_f64 v[241:242], v[147:148], s[6:7], v[239:240]
	v_fma_f64 v[225:226], v[147:148], s[6:7], -v[239:240]
	v_add_f64 v[66:67], v[241:242], v[66:67]
	v_mul_f64 v[241:242], v[219:220], s[22:23]
	v_add_f64 v[74:75], v[225:226], v[74:75]
	v_mul_f64 v[219:220], v[219:220], s[28:29]
	v_fma_f64 v[243:244], v[151:152], s[18:19], -v[241:242]
	v_fma_f64 v[225:226], v[151:152], s[18:19], v[241:242]
	v_add_f64 v[64:65], v[243:244], v[64:65]
	v_mul_f64 v[243:244], v[217:218], s[22:23]
	v_add_f64 v[72:73], v[225:226], v[72:73]
	v_mul_f64 v[225:226], v[78:79], s[24:25]
	v_mul_f64 v[217:218], v[217:218], s[28:29]
	v_fma_f64 v[227:228], v[153:154], s[18:19], -v[243:244]
	v_fma_f64 v[245:246], v[153:154], s[18:19], v[243:244]
	v_fma_f64 v[78:79], v[84:85], s[10:11], -v[225:226]
	v_fma_f64 v[225:226], v[84:85], s[10:11], v[225:226]
	v_add_f64 v[74:75], v[227:228], v[74:75]
	v_fma_f64 v[227:228], v[116:117], s[6:7], -v[82:83]
	v_add_f64 v[78:79], v[12:13], v[78:79]
	v_add_f64 v[225:226], v[12:13], v[225:226]
	v_fma_f64 v[82:83], v[116:117], s[6:7], v[82:83]
	v_add_f64 v[66:67], v[245:246], v[66:67]
	v_add_f64 v[78:79], v[227:228], v[78:79]
	v_mul_f64 v[227:228], v[76:77], s[24:25]
	v_add_f64 v[82:83], v[82:83], v[225:226]
	v_fma_f64 v[76:77], v[86:87], s[10:11], v[227:228]
	v_fma_f64 v[225:226], v[86:87], s[10:11], -v[227:228]
	v_add_f64 v[76:77], v[14:15], v[76:77]
	v_add_f64 v[225:226], v[14:15], v[225:226]
	;; [unrolled: 1-line block ×3, first 2 shown]
	v_fma_f64 v[229:230], v[130:131], s[16:17], -v[207:208]
	v_add_f64 v[80:81], v[80:81], v[225:226]
	v_fma_f64 v[207:208], v[130:131], s[16:17], v[207:208]
	v_add_f64 v[78:79], v[229:230], v[78:79]
	v_fma_f64 v[229:230], v[132:133], s[16:17], v[205:206]
	v_fma_f64 v[205:206], v[132:133], s[16:17], -v[205:206]
	v_add_f64 v[82:83], v[207:208], v[82:83]
	v_fma_f64 v[207:208], v[153:154], s[8:9], -v[217:218]
	v_add_f64 v[76:77], v[229:230], v[76:77]
	;; [unrolled: 2-line block ×3, first 2 shown]
	v_fma_f64 v[205:206], v[141:142], s[0:1], v[211:212]
	v_mul_lo_u16 v211, v221, 13
	v_add_f64 v[78:79], v[229:230], v[78:79]
	v_fma_f64 v[229:230], v[143:144], s[0:1], v[209:210]
	v_add_f64 v[82:83], v[205:206], v[82:83]
	v_fma_f64 v[205:206], v[143:144], s[0:1], -v[209:210]
	v_add_f64 v[76:77], v[229:230], v[76:77]
	v_fma_f64 v[229:230], v[145:146], s[18:19], -v[215:216]
	v_add_f64 v[80:81], v[205:206], v[80:81]
	v_fma_f64 v[205:206], v[145:146], s[18:19], v[215:216]
	v_add_f64 v[78:79], v[229:230], v[78:79]
	v_fma_f64 v[229:230], v[147:148], s[18:19], v[213:214]
	v_add_f64 v[82:83], v[205:206], v[82:83]
	v_fma_f64 v[205:206], v[147:148], s[18:19], -v[213:214]
	v_add_f64 v[229:230], v[229:230], v[76:77]
	v_fma_f64 v[76:77], v[151:152], s[8:9], -v[219:220]
	v_add_f64 v[205:206], v[205:206], v[80:81]
	v_fma_f64 v[80:81], v[151:152], s[8:9], v[219:220]
	v_add_f64 v[76:77], v[76:77], v[78:79]
	v_fma_f64 v[78:79], v[153:154], s[8:9], v[217:218]
	v_add_f64 v[80:81], v[80:81], v[82:83]
	v_add_f64 v[82:83], v[207:208], v[205:206]
	v_add_f64 v[78:79], v[78:79], v[229:230]
	s_and_saveexec_b32 s4, vcc_lo
	s_cbranch_execz .LBB0_7
; %bb.6:
	v_add_f64 v[38:39], v[14:15], v[38:39]
	v_add_f64 v[36:37], v[12:13], v[36:37]
	v_mul_f64 v[205:206], v[116:117], s[0:1]
	v_mul_f64 v[207:208], v[118:119], s[0:1]
	v_mul_f64 v[209:210], v[116:117], s[18:19]
	v_mul_f64 v[212:213], v[118:119], s[18:19]
	v_mul_f64 v[214:215], v[116:117], s[10:11]
	v_mul_f64 v[216:217], v[118:119], s[10:11]
	v_mul_f64 v[116:117], v[116:117], s[16:17]
	v_mul_f64 v[118:119], v[118:119], s[16:17]
	v_mul_f64 v[218:219], v[130:131], s[8:9]
	v_mul_f64 v[225:226], v[132:133], s[8:9]
	v_mul_f64 v[227:228], v[130:131], s[10:11]
	v_mul_f64 v[229:230], v[132:133], s[10:11]
	v_mul_f64 v[231:232], v[141:142], s[18:19]
	v_mul_f64 v[233:234], v[143:144], s[18:19]
	v_mul_f64 v[235:236], v[141:142], s[16:17]
	v_mul_f64 v[237:238], v[143:144], s[16:17]
	v_mul_f64 v[239:240], v[141:142], s[6:7]
	v_mul_f64 v[241:242], v[143:144], s[6:7]
	v_mul_f64 v[141:142], v[141:142], s[8:9]
	v_mul_f64 v[143:144], v[143:144], s[8:9]
	v_add_f64 v[38:39], v[38:39], v[46:47]
	v_add_f64 v[36:37], v[36:37], v[44:45]
	v_mul_f64 v[44:45], v[84:85], s[6:7]
	v_mul_f64 v[46:47], v[86:87], s[6:7]
	v_add_f64 v[98:99], v[98:99], v[207:208]
	v_add_f64 v[96:97], v[205:206], -v[96:97]
	v_add_f64 v[106:107], v[106:107], v[212:213]
	v_add_f64 v[102:103], v[209:210], -v[102:103]
	v_add_f64 v[100:101], v[218:219], -v[100:101]
	v_add_f64 v[104:105], v[104:105], v[225:226]
	v_add_f64 v[108:109], v[227:228], -v[108:109]
	v_add_f64 v[110:111], v[110:111], v[229:230]
	v_add_f64 v[112:113], v[231:232], -v[112:113]
	v_add_f64 v[114:115], v[114:115], v[233:234]
	v_add_f64 v[38:39], v[38:39], v[54:55]
	v_add_f64 v[36:37], v[36:37], v[52:53]
	v_mul_f64 v[52:53], v[84:85], s[0:1]
	v_mul_f64 v[54:55], v[86:87], s[0:1]
	v_add_f64 v[46:47], v[90:91], v[46:47]
	v_add_f64 v[44:45], v[44:45], -v[88:89]
	v_mul_f64 v[88:89], v[145:146], s[8:9]
	v_mul_f64 v[90:91], v[147:148], s[8:9]
	v_add_f64 v[38:39], v[38:39], v[62:63]
	v_add_f64 v[36:37], v[36:37], v[60:61]
	v_mul_f64 v[60:61], v[84:85], s[8:9]
	v_mul_f64 v[62:63], v[86:87], s[8:9]
	v_mul_f64 v[84:85], v[84:85], s[18:19]
	v_mul_f64 v[86:87], v[86:87], s[18:19]
	v_add_f64 v[54:55], v[94:95], v[54:55]
	v_add_f64 v[52:53], v[52:53], -v[92:93]
	v_add_f64 v[92:93], v[201:202], v[118:119]
	v_add_f64 v[94:95], v[116:117], -v[181:182]
	v_add_f64 v[44:45], v[12:13], v[44:45]
	v_add_f64 v[116:117], v[177:178], v[216:217]
	v_add_f64 v[118:119], v[214:215], -v[159:160]
	v_add_f64 v[90:91], v[134:135], v[90:91]
	v_add_f64 v[88:89], v[88:89], -v[128:129]
	v_add_f64 v[38:39], v[38:39], v[58:59]
	;; [unrolled: 5-line block ×3, first 2 shown]
	v_mul_f64 v[56:57], v[130:131], s[18:19]
	v_mul_f64 v[58:59], v[132:133], s[18:19]
	;; [unrolled: 1-line block ×4, first 2 shown]
	v_add_f64 v[54:55], v[14:15], v[54:55]
	v_add_f64 v[44:45], v[96:97], v[44:45]
	;; [unrolled: 1-line block ×5, first 2 shown]
	v_mul_f64 v[48:49], v[145:146], s[16:17]
	v_add_f64 v[62:63], v[14:15], v[62:63]
	v_add_f64 v[84:85], v[12:13], v[84:85]
	;; [unrolled: 1-line block ×7, first 2 shown]
	v_add_f64 v[130:131], v[130:131], -v[199:200]
	v_add_f64 v[54:55], v[106:107], v[54:55]
	v_add_f64 v[58:59], v[179:180], v[58:59]
	v_add_f64 v[56:57], v[56:57], -v[171:172]
	v_mul_f64 v[50:51], v[147:148], s[16:17]
	v_mul_f64 v[52:53], v[145:146], s[10:11]
	;; [unrolled: 1-line block ×3, first 2 shown]
	v_add_f64 v[44:45], v[100:101], v[44:45]
	v_add_f64 v[106:107], v[239:240], -v[173:174]
	v_add_f64 v[38:39], v[38:39], v[42:43]
	v_add_f64 v[36:37], v[36:37], v[40:41]
	v_mul_f64 v[40:41], v[145:146], s[0:1]
	v_add_f64 v[62:63], v[116:117], v[62:63]
	v_add_f64 v[84:85], v[94:95], v[84:85]
	;; [unrolled: 1-line block ×6, first 2 shown]
	v_add_f64 v[98:99], v[141:142], -v[195:196]
	v_add_f64 v[116:117], v[122:123], v[237:238]
	v_add_f64 v[118:119], v[235:236], -v[120:121]
	v_add_f64 v[54:55], v[110:111], v[54:55]
	v_mul_f64 v[42:43], v[147:148], s[0:1]
	v_add_f64 v[102:103], v[175:176], v[241:242]
	v_add_f64 v[52:53], v[52:53], -v[189:190]
	v_add_f64 v[60:61], v[191:192], v[60:61]
	v_add_f64 v[50:51], v[126:127], v[50:51]
	v_add_f64 v[48:49], v[48:49], -v[124:125]
	v_add_f64 v[44:45], v[112:113], v[44:45]
	v_mul_f64 v[92:93], v[151:152], s[6:7]
	v_mul_f64 v[94:95], v[153:154], s[6:7]
	v_add_f64 v[34:35], v[38:39], v[34:35]
	v_add_f64 v[32:33], v[36:37], v[32:33]
	v_mul_f64 v[36:37], v[151:152], s[10:11]
	v_add_f64 v[58:59], v[58:59], v[62:63]
	v_add_f64 v[84:85], v[130:131], v[84:85]
	;; [unrolled: 1-line block ×6, first 2 shown]
	v_mul_f64 v[38:39], v[153:154], s[10:11]
	v_mul_f64 v[56:57], v[151:152], s[0:1]
	;; [unrolled: 1-line block ×3, first 2 shown]
	v_add_f64 v[54:55], v[116:117], v[54:55]
	v_add_f64 v[42:43], v[169:170], v[42:43]
	v_add_f64 v[40:41], v[40:41], -v[167:168]
	v_add_f64 v[44:45], v[48:49], v[44:45]
	v_add_f64 v[30:31], v[34:35], v[30:31]
	;; [unrolled: 1-line block ×3, first 2 shown]
	v_mul_f64 v[32:33], v[151:152], s[16:17]
	v_mul_f64 v[34:35], v[153:154], s[16:17]
	v_add_f64 v[84:85], v[98:99], v[84:85]
	v_add_f64 v[86:87], v[96:97], v[86:87]
	;; [unrolled: 1-line block ×7, first 2 shown]
	v_add_f64 v[36:37], v[36:37], -v[137:138]
	v_add_f64 v[54:55], v[90:91], v[54:55]
	v_add_f64 v[26:27], v[30:31], v[26:27]
	;; [unrolled: 1-line block ×4, first 2 shown]
	v_add_f64 v[30:31], v[56:57], -v[183:184]
	v_add_f64 v[52:53], v[52:53], v[84:85]
	v_add_f64 v[60:61], v[60:61], v[86:87]
	;; [unrolled: 1-line block ×4, first 2 shown]
	v_add_f64 v[62:63], v[92:93], -v[149:150]
	v_add_f64 v[46:47], v[88:89], v[46:47]
	v_add_f64 v[34:35], v[163:164], v[34:35]
	v_add_f64 v[32:33], v[32:33], -v[161:162]
	v_add_f64 v[42:43], v[42:43], v[58:59]
	v_add_f64 v[40:41], v[40:41], v[12:13]
	v_add_f64 v[48:49], v[26:27], v[18:19]
	v_add_f64 v[58:59], v[24:25], v[16:17]
	v_add_f64 v[12:13], v[30:31], v[52:53]
	v_add_f64 v[14:15], v[28:29], v[60:61]
	v_add_f64 v[30:31], v[38:39], v[50:51]
	v_add_f64 v[28:29], v[36:37], v[44:45]
	v_add_f64 v[26:27], v[56:57], v[54:55]
	v_add_f64 v[24:25], v[62:63], v[46:47]
	v_add_f64 v[18:19], v[34:35], v[42:43]
	v_add_f64 v[16:17], v[32:33], v[40:41]
	v_and_b32_e32 v32, 0xffff, v211
	v_add_lshl_u32 v32, v224, v32, 4
	v_add_f64 v[22:23], v[48:49], v[22:23]
	v_add_f64 v[20:21], v[58:59], v[20:21]
	ds_write_b128 v32, v[64:67] offset:80
	ds_write_b128 v32, v[76:79] offset:96
	;; [unrolled: 1-line block ×11, first 2 shown]
	ds_write_b128 v32, v[20:23]
	ds_write_b128 v32, v[0:3] offset:192
.LBB0_7:
	s_or_b32 exec_lo, exec_lo, s4
	v_add_lshl_u32 v209, v224, v221, 4
	s_waitcnt lgkmcnt(0)
	s_barrier
	buffer_gl0_inv
	v_cmp_gt_u16_e64 s0, 52, v221
	ds_read_b128 v[44:47], v209
	ds_read_b128 v[60:63], v209 offset:1872
	ds_read_b128 v[48:51], v209 offset:3744
	;; [unrolled: 1-line block ×4, first 2 shown]
	s_and_saveexec_b32 s1, s0
	s_cbranch_execz .LBB0_9
; %bb.8:
	ds_read_b128 v[64:67], v209 offset:1040
	ds_read_b128 v[76:79], v209 offset:2912
	ds_read_b128 v[80:83], v209 offset:4784
	ds_read_b128 v[72:75], v209 offset:6656
	ds_read_b128 v[68:71], v209 offset:8528
.LBB0_9:
	s_or_b32 exec_lo, exec_lo, s1
	v_and_b32_e32 v12, 0xff, v221
	v_add_nc_u16 v13, v221, 0x41
	s_mov_b32 s8, 0x134454ff
	s_mov_b32 s9, 0x3fee6f0e
	;; [unrolled: 1-line block ×3, first 2 shown]
	v_mul_lo_u16 v12, 0x4f, v12
	v_and_b32_e32 v14, 0xff, v13
	s_mov_b32 s10, s8
	s_mov_b32 s16, 0x4755a5e
	;; [unrolled: 1-line block ×3, first 2 shown]
	v_lshrrev_b16 v143, 10, v12
	v_mul_lo_u16 v12, 0x4f, v14
	s_mov_b32 s19, 0xbfe2cf23
	s_mov_b32 s18, s16
	;; [unrolled: 1-line block ×3, first 2 shown]
	v_mul_lo_u16 v14, v143, 13
	v_lshrrev_b16 v212, 10, v12
	v_mov_b32_e32 v12, 6
	s_mov_b32 s23, 0x3fd3c6ef
	v_sub_nc_u16 v144, v221, v14
	v_mul_lo_u16 v14, v212, 13
	v_lshlrev_b32_sdwa v15, v12, v144 dst_sel:DWORD dst_unused:UNUSED_PAD src0_sel:DWORD src1_sel:BYTE_0
	v_sub_nc_u16 v213, v13, v14
	s_clause 0x2
	global_load_dwordx4 v[40:43], v15, s[2:3]
	global_load_dwordx4 v[32:35], v15, s[2:3] offset:16
	global_load_dwordx4 v[28:31], v15, s[2:3] offset:32
	v_lshlrev_b32_sdwa v20, v12, v213 dst_sel:DWORD dst_unused:UNUSED_PAD src0_sel:DWORD src1_sel:BYTE_0
	s_clause 0x4
	global_load_dwordx4 v[36:39], v15, s[2:3] offset:48
	global_load_dwordx4 v[16:19], v20, s[2:3] offset:16
	;; [unrolled: 1-line block ×3, first 2 shown]
	global_load_dwordx4 v[24:27], v20, s[2:3]
	global_load_dwordx4 v[20:23], v20, s[2:3] offset:48
	s_load_dwordx4 s[4:7], s[20:21], 0x0
	s_waitcnt vmcnt(0) lgkmcnt(0)
	s_barrier
	buffer_gl0_inv
	v_mul_f64 v[84:85], v[62:63], v[42:43]
	v_mul_f64 v[86:87], v[50:51], v[34:35]
	;; [unrolled: 1-line block ×16, first 2 shown]
	v_fma_f64 v[84:85], v[60:61], v[40:41], -v[84:85]
	v_fma_f64 v[86:87], v[48:49], v[32:33], -v[86:87]
	v_fma_f64 v[88:89], v[52:53], v[28:29], -v[88:89]
	v_fma_f64 v[90:91], v[62:63], v[40:41], v[90:91]
	v_fma_f64 v[92:93], v[56:57], v[36:37], -v[92:93]
	v_fma_f64 v[94:95], v[50:51], v[32:33], v[94:95]
	v_fma_f64 v[96:97], v[54:55], v[28:29], v[96:97]
	;; [unrolled: 1-line block ×3, first 2 shown]
	v_fma_f64 v[52:53], v[80:81], v[16:17], -v[100:101]
	v_fma_f64 v[54:55], v[82:83], v[16:17], v[102:103]
	v_fma_f64 v[48:49], v[72:73], v[12:13], -v[104:105]
	v_fma_f64 v[50:51], v[74:75], v[12:13], v[106:107]
	;; [unrolled: 2-line block ×4, first 2 shown]
	v_add_f64 v[80:81], v[44:45], v[84:85]
	v_add_f64 v[82:83], v[84:85], -v[86:87]
	v_add_f64 v[72:73], v[86:87], v[88:89]
	v_add_f64 v[106:107], v[86:87], -v[84:85]
	v_add_f64 v[74:75], v[84:85], v[92:93]
	v_add_f64 v[110:111], v[46:47], v[90:91]
	;; [unrolled: 1-line block ×4, first 2 shown]
	v_add_f64 v[100:101], v[90:91], -v[98:99]
	v_add_f64 v[102:103], v[94:95], -v[96:97]
	v_add_f64 v[68:69], v[52:53], v[48:49]
	v_add_f64 v[78:79], v[54:55], v[50:51]
	v_add_f64 v[84:85], v[84:85], -v[92:93]
	v_add_f64 v[116:117], v[86:87], -v[88:89]
	v_add_f64 v[104:105], v[92:93], -v[88:89]
	v_add_f64 v[108:109], v[88:89], -v[92:93]
	v_add_f64 v[120:121], v[98:99], -v[96:97]
	v_add_f64 v[122:123], v[96:97], -v[98:99]
	v_add_f64 v[124:125], v[56:57], -v[52:53]
	v_add_f64 v[126:127], v[62:63], -v[48:49]
	v_add_f64 v[128:129], v[60:61], -v[54:55]
	v_add_f64 v[130:131], v[58:59], -v[50:51]
	v_add_f64 v[86:87], v[80:81], v[86:87]
	v_fma_f64 v[112:113], v[72:73], -0.5, v[44:45]
	v_fma_f64 v[114:115], v[74:75], -0.5, v[44:45]
	v_add_f64 v[44:45], v[60:61], -v[58:59]
	v_fma_f64 v[76:77], v[76:77], -0.5, v[46:47]
	v_fma_f64 v[118:119], v[70:71], -0.5, v[46:47]
	v_add_f64 v[46:47], v[56:57], -v[62:63]
	v_add_f64 v[70:71], v[54:55], -v[50:51]
	v_fma_f64 v[68:69], v[68:69], -0.5, v[64:65]
	v_fma_f64 v[72:73], v[78:79], -0.5, v[66:67]
	v_add_f64 v[78:79], v[90:91], -v[94:95]
	v_add_f64 v[90:91], v[94:95], -v[90:91]
	;; [unrolled: 1-line block ×3, first 2 shown]
	v_add_f64 v[94:95], v[110:111], v[94:95]
	v_add_f64 v[104:105], v[82:83], v[104:105]
	;; [unrolled: 1-line block ×6, first 2 shown]
	v_fma_f64 v[110:111], v[100:101], s[8:9], v[112:113]
	v_fma_f64 v[112:113], v[100:101], s[10:11], v[112:113]
	;; [unrolled: 1-line block ×10, first 2 shown]
	v_add_f64 v[78:79], v[78:79], v[120:121]
	v_add_f64 v[108:109], v[90:91], v[122:123]
	;; [unrolled: 1-line block ×3, first 2 shown]
	v_fma_f64 v[90:91], v[102:103], s[16:17], v[110:111]
	v_fma_f64 v[94:95], v[102:103], s[18:19], v[112:113]
	;; [unrolled: 1-line block ×10, first 2 shown]
	v_add_f64 v[85:86], v[86:87], v[92:93]
	v_mov_b32_e32 v84, 0x41
	v_add_f64 v[87:88], v[88:89], v[98:99]
	v_fma_f64 v[89:90], v[104:105], s[22:23], v[90:91]
	v_fma_f64 v[93:94], v[104:105], s[22:23], v[94:95]
	;; [unrolled: 1-line block ×10, first 2 shown]
	v_mul_u32_u24_sdwa v105, v143, v84 dst_sel:DWORD dst_unused:UNUSED_PAD src0_sel:WORD_0 src1_sel:DWORD
	v_add_nc_u32_sdwa v105, v105, v144 dst_sel:DWORD dst_unused:UNUSED_PAD src0_sel:DWORD src1_sel:BYTE_0
	v_add_lshl_u32 v214, v224, v105, 4
	ds_write_b128 v214, v[85:88]
	ds_write_b128 v214, v[89:92] offset:208
	ds_write_b128 v214, v[97:100] offset:416
	;; [unrolled: 1-line block ×4, first 2 shown]
	s_and_saveexec_b32 s1, s0
	s_cbranch_execz .LBB0_11
; %bb.10:
	v_add_f64 v[85:86], v[60:61], v[58:59]
	v_add_f64 v[87:88], v[56:57], v[62:63]
	;; [unrolled: 1-line block ×4, first 2 shown]
	v_mul_f64 v[89:90], v[46:47], s[8:9]
	v_mul_f64 v[93:94], v[44:45], s[8:9]
	v_add_f64 v[60:61], v[54:55], -v[60:61]
	v_add_f64 v[56:57], v[52:53], -v[56:57]
	;; [unrolled: 1-line block ×4, first 2 shown]
	v_fma_f64 v[66:67], v[85:86], -0.5, v[66:67]
	v_fma_f64 v[64:65], v[87:88], -0.5, v[64:65]
	v_add_f64 v[54:55], v[91:92], v[54:55]
	v_add_f64 v[52:53], v[95:96], v[52:53]
	v_mul_f64 v[85:86], v[70:71], s[16:17]
	v_mul_f64 v[87:88], v[74:75], s[16:17]
	v_add_f64 v[72:73], v[72:73], -v[89:90]
	v_add_f64 v[68:69], v[68:69], v[93:94]
	v_add_f64 v[60:61], v[60:61], v[97:98]
	v_fma_f64 v[89:90], v[74:75], s[10:11], v[66:67]
	v_fma_f64 v[66:67], v[74:75], s[8:9], v[66:67]
	;; [unrolled: 1-line block ×4, first 2 shown]
	v_add_f64 v[50:51], v[54:55], v[50:51]
	v_add_f64 v[48:49], v[52:53], v[48:49]
	v_mul_f64 v[70:71], v[80:81], s[22:23]
	v_mul_f64 v[80:81], v[82:83], s[22:23]
	v_add_f64 v[82:83], v[56:57], v[99:100]
	v_add_f64 v[56:57], v[72:73], -v[87:88]
	v_add_f64 v[54:55], v[85:86], v[68:69]
	v_fma_f64 v[52:53], v[46:47], s[16:17], v[89:90]
	v_fma_f64 v[66:67], v[46:47], s[18:19], v[66:67]
	;; [unrolled: 1-line block ×4, first 2 shown]
	v_add_f64 v[50:51], v[50:51], v[58:59]
	v_add_f64 v[48:49], v[48:49], v[62:63]
	;; [unrolled: 1-line block ×4, first 2 shown]
	v_fma_f64 v[54:55], v[60:61], s[22:23], v[52:53]
	v_fma_f64 v[58:59], v[60:61], s[22:23], v[66:67]
	;; [unrolled: 1-line block ×4, first 2 shown]
	v_mul_u32_u24_sdwa v60, v212, v84 dst_sel:DWORD dst_unused:UNUSED_PAD src0_sel:WORD_0 src1_sel:DWORD
	v_add_nc_u32_sdwa v60, v60, v213 dst_sel:DWORD dst_unused:UNUSED_PAD src0_sel:DWORD src1_sel:BYTE_0
	v_add_lshl_u32 v60, v224, v60, 4
	ds_write_b128 v60, v[48:51]
	ds_write_b128 v60, v[44:47] offset:208
	ds_write_b128 v60, v[56:59] offset:416
	;; [unrolled: 1-line block ×4, first 2 shown]
.LBB0_11:
	s_or_b32 exec_lo, exec_lo, s1
	v_lshlrev_b32_e32 v44, 7, v221
	s_waitcnt lgkmcnt(0)
	s_barrier
	buffer_gl0_inv
	s_mov_b32 s8, 0x8c811c17
	s_clause 0x7
	global_load_dwordx4 v[52:55], v44, s[2:3] offset:832
	global_load_dwordx4 v[60:63], v44, s[2:3] offset:944
	;; [unrolled: 1-line block ×8, first 2 shown]
	ds_read_b128 v[80:83], v209 offset:1040
	ds_read_b128 v[84:87], v209 offset:8320
	;; [unrolled: 1-line block ×8, first 2 shown]
	s_mov_b32 s3, 0x3fe491b7
	s_mov_b32 s2, 0x523c161c
	;; [unrolled: 1-line block ×7, first 2 shown]
	v_lshl_add_u32 v210, v221, 4, v223
	s_waitcnt vmcnt(7) lgkmcnt(7)
	v_mul_f64 v[112:113], v[82:83], v[54:55]
	v_mul_f64 v[114:115], v[80:81], v[54:55]
	s_waitcnt vmcnt(6) lgkmcnt(6)
	v_mul_f64 v[116:117], v[86:87], v[62:63]
	v_mul_f64 v[118:119], v[84:85], v[62:63]
	;; [unrolled: 3-line block ×6, first 2 shown]
	v_fma_f64 v[112:113], v[80:81], v[52:53], -v[112:113]
	v_fma_f64 v[114:115], v[82:83], v[52:53], v[114:115]
	ds_read_b128 v[80:83], v209
	v_fma_f64 v[84:85], v[84:85], v[60:61], -v[116:117]
	v_fma_f64 v[86:87], v[86:87], v[60:61], v[118:119]
	v_fma_f64 v[88:89], v[88:89], v[56:57], -v[120:121]
	v_fma_f64 v[90:91], v[90:91], v[56:57], v[122:123]
	;; [unrolled: 2-line block ×5, first 2 shown]
	s_waitcnt vmcnt(1) lgkmcnt(2)
	v_mul_f64 v[116:117], v[106:107], v[50:51]
	v_mul_f64 v[118:119], v[104:105], v[50:51]
	s_waitcnt vmcnt(0) lgkmcnt(1)
	v_mul_f64 v[120:121], v[110:111], v[46:47]
	v_mul_f64 v[122:123], v[108:109], v[46:47]
	v_add_f64 v[124:125], v[112:113], -v[84:85]
	v_add_f64 v[126:127], v[114:115], -v[86:87]
	v_add_f64 v[84:85], v[112:113], v[84:85]
	v_add_f64 v[86:87], v[114:115], v[86:87]
	;; [unrolled: 1-line block ×4, first 2 shown]
	v_add_f64 v[128:129], v[88:89], -v[92:93]
	v_add_f64 v[130:131], v[90:91], -v[94:95]
	v_add_f64 v[132:133], v[96:97], v[100:101]
	v_add_f64 v[134:135], v[98:99], v[102:103]
	v_add_f64 v[96:97], v[96:97], -v[100:101]
	v_add_f64 v[98:99], v[98:99], -v[102:103]
	v_fma_f64 v[104:105], v[104:105], v[48:49], -v[116:117]
	v_fma_f64 v[106:107], v[106:107], v[48:49], v[118:119]
	v_fma_f64 v[108:109], v[108:109], v[44:45], -v[120:121]
	v_fma_f64 v[110:111], v[110:111], v[44:45], v[122:123]
	v_mul_f64 v[100:101], v[124:125], s[2:3]
	v_mul_f64 v[102:103], v[126:127], s[2:3]
	s_mov_b32 s3, 0xbfe491b7
	s_waitcnt lgkmcnt(0)
	v_fma_f64 v[116:117], v[84:85], s[10:11], v[80:81]
	v_fma_f64 v[118:119], v[86:87], s[10:11], v[82:83]
	;; [unrolled: 1-line block ×4, first 2 shown]
	v_mul_f64 v[137:138], v[128:129], s[8:9]
	v_mul_f64 v[139:140], v[130:131], s[8:9]
	v_fma_f64 v[141:142], v[132:133], s[10:11], v[80:81]
	v_fma_f64 v[143:144], v[134:135], s[10:11], v[82:83]
	v_mul_f64 v[145:146], v[130:131], s[2:3]
	v_mul_f64 v[147:148], v[128:129], s[2:3]
	v_add_f64 v[153:154], v[132:133], v[84:85]
	v_add_f64 v[149:150], v[104:105], v[108:109]
	;; [unrolled: 1-line block ×4, first 2 shown]
	v_add_f64 v[104:105], v[104:105], -v[108:109]
	v_add_f64 v[106:107], v[106:107], -v[110:111]
	s_mov_b32 s10, 0xe8584cab
	s_mov_b32 s11, 0x3febb67a
	v_fma_f64 v[100:101], v[96:97], s[8:9], v[100:101]
	v_fma_f64 v[102:103], v[98:99], s[8:9], v[102:103]
	;; [unrolled: 1-line block ×6, first 2 shown]
	v_fma_f64 v[120:121], v[96:97], s[2:3], -v[137:138]
	v_fma_f64 v[122:123], v[98:99], s[2:3], -v[139:140]
	v_fma_f64 v[137:138], v[112:113], s[16:17], v[141:142]
	v_fma_f64 v[139:140], v[114:115], s[16:17], v[143:144]
	;; [unrolled: 1-line block ×4, first 2 shown]
	s_mov_b32 s3, 0xbfebb67a
	s_mov_b32 s2, s10
	v_add_f64 v[145:146], v[128:129], v[124:125]
	v_add_f64 v[147:148], v[130:131], v[126:127]
	;; [unrolled: 1-line block ×8, first 2 shown]
	v_fma_f64 v[100:101], v[104:105], s[10:11], v[100:101]
	v_fma_f64 v[102:103], v[106:107], s[10:11], v[102:103]
	v_fma_f64 v[108:109], v[149:150], -0.5, v[108:109]
	v_fma_f64 v[110:111], v[151:152], -0.5, v[110:111]
	;; [unrolled: 1-line block ×4, first 2 shown]
	v_fma_f64 v[120:121], v[104:105], s[10:11], v[120:121]
	v_fma_f64 v[122:123], v[106:107], s[10:11], v[122:123]
	v_fma_f64 v[137:138], v[149:150], -0.5, v[137:138]
	v_fma_f64 v[139:140], v[151:152], -0.5, v[139:140]
	v_fma_f64 v[106:107], v[106:107], s[2:3], v[141:142]
	v_fma_f64 v[104:105], v[104:105], s[2:3], v[143:144]
	s_mov_b32 s8, 0x748a0bf8
	s_mov_b32 s16, 0x42522d1b
	;; [unrolled: 1-line block ×4, first 2 shown]
	v_add_f64 v[141:142], v[145:146], -v[96:97]
	v_add_f64 v[143:144], v[147:148], -v[98:99]
	v_fma_f64 v[145:146], v[161:162], -0.5, v[157:158]
	v_fma_f64 v[147:148], v[163:164], -0.5, v[159:160]
	v_add_f64 v[88:89], v[88:89], v[153:154]
	v_add_f64 v[90:91], v[90:91], v[155:156]
	v_fma_f64 v[100:101], v[128:129], s[8:9], v[100:101]
	v_fma_f64 v[102:103], v[130:131], s[8:9], v[102:103]
	;; [unrolled: 1-line block ×12, first 2 shown]
	v_mul_f64 v[128:129], v[141:142], s[10:11]
	v_mul_f64 v[130:131], v[143:144], s[10:11]
	v_fma_f64 v[104:105], v[143:144], s[10:11], v[145:146]
	v_fma_f64 v[106:107], v[141:142], s[2:3], v[147:148]
	v_add_f64 v[88:89], v[92:93], v[88:89]
	v_add_f64 v[90:91], v[94:95], v[90:91]
	v_add_f64 v[112:113], v[102:103], v[108:109]
	v_add_f64 v[114:115], v[110:111], -v[100:101]
	v_add_f64 v[96:97], v[122:123], v[84:85]
	v_add_f64 v[98:99], v[86:87], -v[120:121]
	v_add_f64 v[108:109], v[124:125], v[116:117]
	v_add_f64 v[110:111], v[118:119], -v[126:127]
	v_fma_f64 v[92:93], v[130:131], -2.0, v[104:105]
	v_fma_f64 v[94:95], v[128:129], 2.0, v[106:107]
	v_add_f64 v[80:81], v[80:81], v[88:89]
	v_add_f64 v[82:83], v[82:83], v[90:91]
	v_fma_f64 v[84:85], v[102:103], -2.0, v[112:113]
	v_fma_f64 v[86:87], v[100:101], 2.0, v[114:115]
	v_fma_f64 v[100:101], v[122:123], -2.0, v[96:97]
	v_fma_f64 v[102:103], v[120:121], 2.0, v[98:99]
	;; [unrolled: 2-line block ×3, first 2 shown]
	ds_write_b128 v210, v[104:107] offset:3120
	ds_write_b128 v210, v[80:83]
	ds_write_b128 v210, v[112:115] offset:1040
	ds_write_b128 v210, v[96:99] offset:4160
	;; [unrolled: 1-line block ×7, first 2 shown]
	s_waitcnt lgkmcnt(0)
	s_barrier
	buffer_gl0_inv
	s_and_saveexec_b32 s2, vcc_lo
	s_cbranch_execz .LBB0_13
; %bb.12:
	v_add_co_u32 v169, s1, s14, v222
	v_add_co_ci_u32_e64 v170, null, s15, 0, s1
	v_add_co_u32 v116, s1, 0x2000, v169
	v_add_co_ci_u32_e64 v117, s1, 0, v170, s1
	v_add_co_u32 v124, s1, 0x2490, v169
	v_add_co_ci_u32_e64 v125, s1, 0, v170, s1
	global_load_dwordx4 v[116:119], v[116:117], off offset:1168
	v_add_co_u32 v132, s1, 0x2800, v169
	s_clause 0x1
	global_load_dwordx4 v[120:123], v[124:125], off offset:720
	global_load_dwordx4 v[124:127], v[124:125], off offset:1440
	v_add_co_ci_u32_e64 v133, s1, 0, v170, s1
	s_clause 0x1
	global_load_dwordx4 v[128:131], v[132:133], off offset:1280
	global_load_dwordx4 v[132:135], v[132:133], off offset:2000
	v_add_co_u32 v141, s1, 0x3000, v169
	v_add_co_ci_u32_e64 v142, s1, 0, v170, s1
	s_clause 0x1
	global_load_dwordx4 v[137:140], v[141:142], off offset:672
	global_load_dwordx4 v[141:144], v[141:142], off offset:1392
	v_add_co_u32 v153, s1, 0x3800, v169
	v_add_co_ci_u32_e64 v154, s1, 0, v170, s1
	s_clause 0x2
	global_load_dwordx4 v[145:148], v[153:154], off offset:64
	global_load_dwordx4 v[149:152], v[153:154], off offset:784
	;; [unrolled: 1-line block ×3, first 2 shown]
	ds_read_b128 v[157:160], v210
	ds_read_b128 v[161:164], v210 offset:720
	v_add_co_u32 v173, s1, 0x4000, v169
	v_add_co_ci_u32_e64 v174, s1, 0, v170, s1
	s_waitcnt vmcnt(9) lgkmcnt(1)
	v_mul_f64 v[165:166], v[159:160], v[118:119]
	v_mul_f64 v[118:119], v[157:158], v[118:119]
	s_waitcnt vmcnt(8) lgkmcnt(0)
	v_mul_f64 v[167:168], v[163:164], v[122:123]
	v_mul_f64 v[122:123], v[161:162], v[122:123]
	v_fma_f64 v[157:158], v[157:158], v[116:117], -v[165:166]
	v_fma_f64 v[159:160], v[159:160], v[116:117], v[118:119]
	ds_read_b128 v[116:119], v210 offset:1440
	v_fma_f64 v[161:162], v[161:162], v[120:121], -v[167:168]
	v_fma_f64 v[163:164], v[163:164], v[120:121], v[122:123]
	ds_read_b128 v[120:123], v210 offset:2160
	s_waitcnt vmcnt(7) lgkmcnt(1)
	v_mul_f64 v[165:166], v[118:119], v[126:127]
	v_mul_f64 v[126:127], v[116:117], v[126:127]
	s_waitcnt vmcnt(6) lgkmcnt(0)
	v_mul_f64 v[167:168], v[122:123], v[130:131]
	v_mul_f64 v[130:131], v[120:121], v[130:131]
	v_fma_f64 v[116:117], v[116:117], v[124:125], -v[165:166]
	v_fma_f64 v[118:119], v[118:119], v[124:125], v[126:127]
	ds_read_b128 v[124:127], v210 offset:2880
	v_fma_f64 v[120:121], v[120:121], v[128:129], -v[167:168]
	v_fma_f64 v[122:123], v[122:123], v[128:129], v[130:131]
	ds_read_b128 v[128:131], v210 offset:3600
	;; [unrolled: 12-line block ×4, first 2 shown]
	s_waitcnt vmcnt(1) lgkmcnt(1)
	v_mul_f64 v[165:166], v[143:144], v[151:152]
	v_mul_f64 v[151:152], v[141:142], v[151:152]
	s_waitcnt vmcnt(0) lgkmcnt(0)
	v_mul_f64 v[167:168], v[147:148], v[155:156]
	v_mul_f64 v[155:156], v[145:146], v[155:156]
	v_fma_f64 v[141:142], v[141:142], v[149:150], -v[165:166]
	v_fma_f64 v[143:144], v[143:144], v[149:150], v[151:152]
	global_load_dwordx4 v[149:152], v[173:174], off offset:176
	v_fma_f64 v[145:146], v[145:146], v[153:154], -v[167:168]
	v_fma_f64 v[147:148], v[147:148], v[153:154], v[155:156]
	global_load_dwordx4 v[153:156], v[173:174], off offset:896
	ds_read_b128 v[165:168], v210 offset:7200
	ds_read_b128 v[169:172], v210 offset:7920
	s_waitcnt vmcnt(1) lgkmcnt(1)
	v_mul_f64 v[175:176], v[167:168], v[151:152]
	v_mul_f64 v[151:152], v[165:166], v[151:152]
	v_fma_f64 v[165:166], v[165:166], v[149:150], -v[175:176]
	v_fma_f64 v[167:168], v[167:168], v[149:150], v[151:152]
	s_waitcnt vmcnt(0) lgkmcnt(0)
	v_mul_f64 v[149:150], v[171:172], v[155:156]
	v_mul_f64 v[151:152], v[169:170], v[155:156]
	v_fma_f64 v[149:150], v[169:170], v[153:154], -v[149:150]
	v_fma_f64 v[151:152], v[171:172], v[153:154], v[151:152]
	global_load_dwordx4 v[153:156], v[173:174], off offset:1616
	ds_read_b128 v[169:172], v210 offset:8640
	s_waitcnt vmcnt(0) lgkmcnt(0)
	v_mul_f64 v[173:174], v[171:172], v[155:156]
	v_mul_f64 v[155:156], v[169:170], v[155:156]
	v_fma_f64 v[169:170], v[169:170], v[153:154], -v[173:174]
	v_fma_f64 v[171:172], v[171:172], v[153:154], v[155:156]
	ds_write_b128 v210, v[157:160]
	ds_write_b128 v210, v[161:164] offset:720
	ds_write_b128 v210, v[116:119] offset:1440
	;; [unrolled: 1-line block ×12, first 2 shown]
.LBB0_13:
	s_or_b32 exec_lo, exec_lo, s2
	s_waitcnt lgkmcnt(0)
	s_barrier
	buffer_gl0_inv
	s_and_saveexec_b32 s1, vcc_lo
	s_cbranch_execz .LBB0_15
; %bb.14:
	ds_read_b128 v[80:83], v210
	ds_read_b128 v[112:115], v210 offset:720
	ds_read_b128 v[108:111], v210 offset:1440
	;; [unrolled: 1-line block ×12, first 2 shown]
.LBB0_15:
	s_or_b32 exec_lo, exec_lo, s1
	s_waitcnt lgkmcnt(0)
	v_add_f64 v[153:154], v[114:115], -v[2:3]
	s_mov_b32 s10, 0x2ef20147
	s_mov_b32 s11, 0xbfedeba7
	v_add_f64 v[155:156], v[114:115], v[2:3]
	v_add_f64 v[151:152], v[112:113], v[0:1]
	v_add_f64 v[141:142], v[110:111], -v[6:7]
	s_mov_b32 s2, 0xb2365da1
	s_mov_b32 s16, 0x24c2f84
	;; [unrolled: 1-line block ×12, first 2 shown]
	v_add_f64 v[157:158], v[112:113], -v[0:1]
	v_add_f64 v[137:138], v[110:111], v[6:7]
	v_add_f64 v[139:140], v[108:109], v[4:5]
	s_mov_b32 s26, 0x66966769
	v_mul_f64 v[173:174], v[153:154], s[10:11]
	v_mul_f64 v[116:117], v[153:154], s[16:17]
	;; [unrolled: 1-line block ×6, first 2 shown]
	s_mov_b32 s22, 0xebaa3ed8
	s_mov_b32 s30, 0x4267c47c
	;; [unrolled: 1-line block ×9, first 2 shown]
	v_mul_f64 v[177:178], v[155:156], s[2:3]
	v_add_f64 v[143:144], v[108:109], -v[4:5]
	v_mul_f64 v[149:150], v[141:142], s[26:27]
	v_add_f64 v[145:146], v[106:107], v[10:11]
	v_mul_f64 v[159:160], v[137:138], s[22:23]
	v_add_f64 v[147:148], v[106:107], -v[10:11]
	v_mul_f64 v[161:162], v[141:142], s[30:31]
	v_fma_f64 v[124:125], v[151:152], s[2:3], -v[173:174]
	v_fma_f64 v[128:129], v[151:152], s[8:9], v[116:117]
	v_fma_f64 v[132:133], v[151:152], s[20:21], v[120:121]
	;; [unrolled: 1-line block ×5, first 2 shown]
	v_fma_f64 v[120:121], v[151:152], s[20:21], -v[120:121]
	v_fma_f64 v[122:123], v[157:158], s[18:19], v[122:123]
	v_mul_f64 v[163:164], v[137:138], s[28:29]
	v_fma_f64 v[165:166], v[139:140], s[8:9], -v[167:168]
	s_mov_b32 s38, 0x42a4c3d2
	s_mov_b32 s36, 0x1ea71119
	s_mov_b32 s35, 0xbfefc445
	s_mov_b32 s34, s26
	s_mov_b32 s43, 0xbfddbe06
	s_mov_b32 s42, s30
	s_mov_b32 s39, 0xbfea55e2
	s_mov_b32 s37, 0x3fe22d96
	v_fma_f64 v[126:127], v[157:158], s[10:11], v[177:178]
	v_fma_f64 v[116:117], v[151:152], s[8:9], -v[116:117]
	v_mul_f64 v[169:170], v[137:138], s[8:9]
	v_fma_f64 v[175:176], v[139:140], s[22:23], v[149:150]
	v_add_f64 v[124:125], v[80:81], v[124:125]
	v_add_f64 v[128:129], v[80:81], v[128:129]
	;; [unrolled: 1-line block ×5, first 2 shown]
	v_fma_f64 v[179:180], v[143:144], s[34:35], v[159:160]
	v_add_f64 v[120:121], v[80:81], v[120:121]
	v_add_f64 v[122:123], v[82:83], v[122:123]
	v_fma_f64 v[181:182], v[139:140], s[22:23], -v[149:150]
	v_fma_f64 v[183:184], v[143:144], s[26:27], v[159:160]
	v_fma_f64 v[185:186], v[139:140], s[28:29], v[161:162]
	;; [unrolled: 1-line block ×3, first 2 shown]
	v_fma_f64 v[193:194], v[139:140], s[28:29], -v[161:162]
	v_fma_f64 v[163:164], v[143:144], s[30:31], v[163:164]
	v_add_f64 v[149:150], v[104:105], v[8:9]
	v_add_f64 v[159:160], v[104:105], -v[8:9]
	v_mul_f64 v[187:188], v[147:148], s[30:31]
	v_mul_f64 v[195:196], v[147:148], s[38:39]
	;; [unrolled: 1-line block ×3, first 2 shown]
	s_mov_b32 s45, 0x3fea55e2
	s_mov_b32 s44, s38
	v_add_f64 v[126:127], v[82:83], v[126:127]
	v_add_f64 v[124:125], v[165:166], v[124:125]
	v_add_f64 v[165:166], v[98:99], -v[78:79]
	v_add_f64 v[116:117], v[80:81], v[116:117]
	v_add_f64 v[134:135], v[82:83], v[134:135]
	v_fma_f64 v[171:172], v[143:144], s[24:25], v[169:170]
	v_mul_f64 v[189:190], v[145:146], s[28:29]
	v_mul_f64 v[199:200], v[147:148], s[16:17]
	v_mul_f64 v[201:202], v[145:146], s[8:9]
	v_add_f64 v[128:129], v[175:176], v[128:129]
	v_add_f64 v[130:131], v[179:180], v[130:131]
	;; [unrolled: 1-line block ×8, first 2 shown]
	v_fma_f64 v[175:176], v[149:150], s[28:29], -v[187:188]
	v_fma_f64 v[183:184], v[149:150], s[36:37], v[195:196]
	v_fma_f64 v[185:186], v[159:160], s[44:45], v[197:198]
	;; [unrolled: 1-line block ×3, first 2 shown]
	s_mov_b32 s47, 0x3fedeba7
	s_mov_b32 s46, s10
	v_mul_f64 v[197:198], v[165:166], s[34:35]
	v_mul_f64 v[207:208], v[165:166], s[40:41]
	v_add_f64 v[116:117], v[181:182], v[116:117]
	v_add_f64 v[126:127], v[171:172], v[126:127]
	;; [unrolled: 1-line block ×3, first 2 shown]
	v_fma_f64 v[179:180], v[159:160], s[30:31], v[189:190]
	v_fma_f64 v[191:192], v[149:150], s[36:37], -v[195:196]
	v_fma_f64 v[195:196], v[149:150], s[8:9], v[199:200]
	v_fma_f64 v[203:204], v[159:160], s[24:25], v[201:202]
	v_fma_f64 v[205:206], v[149:150], s[8:9], -v[199:200]
	v_fma_f64 v[201:202], v[159:160], s[16:17], v[201:202]
	v_add_f64 v[171:172], v[96:97], -v[76:77]
	v_mul_f64 v[199:200], v[161:162], s[22:23]
	v_mul_f64 v[215:216], v[161:162], s[20:21]
	;; [unrolled: 1-line block ×4, first 2 shown]
	v_add_f64 v[124:125], v[175:176], v[124:125]
	v_add_f64 v[181:182], v[102:103], -v[86:87]
	v_add_f64 v[175:176], v[102:103], v[86:87]
	v_add_f64 v[128:129], v[183:184], v[128:129]
	;; [unrolled: 1-line block ×4, first 2 shown]
	v_fma_f64 v[185:186], v[163:164], s[22:23], -v[197:198]
	v_fma_f64 v[193:194], v[163:164], s[20:21], v[207:208]
	v_add_f64 v[183:184], v[100:101], -v[84:85]
	s_barrier
	buffer_gl0_inv
	v_add_f64 v[126:127], v[179:180], v[126:127]
	v_add_f64 v[116:117], v[191:192], v[116:117]
	;; [unrolled: 1-line block ×6, first 2 shown]
	v_fma_f64 v[205:206], v[163:164], s[20:21], -v[207:208]
	v_fma_f64 v[191:192], v[171:172], s[34:35], v[199:200]
	v_fma_f64 v[195:196], v[171:172], s[18:19], v[215:216]
	;; [unrolled: 1-line block ×5, first 2 shown]
	v_fma_f64 v[217:218], v[163:164], s[36:37], -v[217:218]
	v_fma_f64 v[219:220], v[171:172], s[44:45], v[219:220]
	v_add_f64 v[179:180], v[100:101], v[84:85]
	v_mul_f64 v[201:202], v[181:182], s[40:41]
	v_mul_f64 v[203:204], v[175:176], s[20:21]
	v_mul_f64 v[226:227], v[181:182], s[30:31]
	v_mul_f64 v[228:229], v[175:176], s[28:29]
	v_mul_f64 v[230:231], v[181:182], s[10:11]
	v_mul_f64 v[232:233], v[175:176], s[2:3]
	v_add_f64 v[124:125], v[185:186], v[124:125]
	v_add_f64 v[128:129], v[193:194], v[128:129]
	v_add_f64 v[193:194], v[94:95], -v[90:91]
	v_add_f64 v[185:186], v[94:95], v[90:91]
	v_add_f64 v[116:117], v[205:206], v[116:117]
	;; [unrolled: 1-line block ×10, first 2 shown]
	v_fma_f64 v[215:216], v[179:180], s[20:21], -v[201:202]
	v_fma_f64 v[217:218], v[183:184], s[40:41], v[203:204]
	v_fma_f64 v[219:220], v[179:180], s[28:29], v[226:227]
	;; [unrolled: 1-line block ×3, first 2 shown]
	v_fma_f64 v[226:227], v[179:180], s[28:29], -v[226:227]
	v_fma_f64 v[228:229], v[183:184], s[30:31], v[228:229]
	v_fma_f64 v[234:235], v[179:180], s[2:3], v[230:231]
	;; [unrolled: 1-line block ×3, first 2 shown]
	v_fma_f64 v[230:231], v[179:180], s[2:3], -v[230:231]
	v_fma_f64 v[232:233], v[183:184], s[10:11], v[232:233]
	v_add_f64 v[195:196], v[92:93], -v[88:89]
	v_mul_f64 v[205:206], v[193:194], s[44:45]
	v_mul_f64 v[207:208], v[185:186], s[36:37]
	;; [unrolled: 1-line block ×6, first 2 shown]
	v_add_f64 v[124:125], v[215:216], v[124:125]
	v_add_f64 v[126:127], v[217:218], v[126:127]
	;; [unrolled: 1-line block ×10, first 2 shown]
	v_fma_f64 v[116:117], v[191:192], s[36:37], -v[205:206]
	v_fma_f64 v[118:119], v[195:196], s[44:45], v[207:208]
	v_fma_f64 v[120:121], v[191:192], s[2:3], v[238:239]
	;; [unrolled: 1-line block ×3, first 2 shown]
	v_fma_f64 v[230:231], v[191:192], s[2:3], -v[238:239]
	v_fma_f64 v[232:233], v[195:196], s[10:11], v[240:241]
	v_fma_f64 v[234:235], v[191:192], s[22:23], v[242:243]
	;; [unrolled: 1-line block ×3, first 2 shown]
	v_fma_f64 v[238:239], v[191:192], s[22:23], -v[242:243]
	v_fma_f64 v[240:241], v[195:196], s[26:27], v[244:245]
	v_add_f64 v[132:133], v[116:117], v[124:125]
	v_add_f64 v[134:135], v[118:119], v[126:127]
	;; [unrolled: 1-line block ×10, first 2 shown]
	s_and_saveexec_b32 s1, vcc_lo
	s_cbranch_execz .LBB0_17
; %bb.16:
	v_add_f64 v[114:115], v[82:83], v[114:115]
	v_add_f64 v[112:113], v[80:81], v[112:113]
	;; [unrolled: 1-line block ×4, first 2 shown]
	v_mul_f64 v[112:113], v[153:154], s[42:43]
	v_add_f64 v[106:107], v[110:111], v[106:107]
	v_add_f64 v[104:105], v[108:109], v[104:105]
	v_mul_f64 v[110:111], v[153:154], s[38:39]
	v_mul_f64 v[108:109], v[153:154], s[34:35]
	v_add_f64 v[98:99], v[106:107], v[98:99]
	v_add_f64 v[96:97], v[104:105], v[96:97]
	v_fma_f64 v[153:154], v[151:152], s[36:37], -v[110:111]
	v_fma_f64 v[114:115], v[151:152], s[22:23], -v[108:109]
	v_fma_f64 v[108:109], v[151:152], s[22:23], v[108:109]
	v_fma_f64 v[110:111], v[151:152], s[36:37], v[110:111]
	v_add_f64 v[98:99], v[98:99], v[102:103]
	v_add_f64 v[96:97], v[96:97], v[100:101]
	v_mul_f64 v[100:101], v[157:158], s[42:43]
	v_add_f64 v[114:115], v[80:81], v[114:115]
	v_add_f64 v[108:109], v[80:81], v[108:109]
	;; [unrolled: 1-line block ×5, first 2 shown]
	v_mul_f64 v[96:97], v[157:158], s[34:35]
	v_mul_f64 v[98:99], v[157:158], s[38:39]
	v_fma_f64 v[106:107], v[155:156], s[28:29], v[100:101]
	v_fma_f64 v[100:101], v[155:156], s[28:29], -v[100:101]
	v_add_f64 v[90:91], v[94:95], v[90:91]
	v_add_f64 v[88:89], v[92:93], v[88:89]
	v_mul_f64 v[92:93], v[157:158], s[10:11]
	v_mul_f64 v[94:95], v[151:152], s[2:3]
	v_fma_f64 v[102:103], v[155:156], s[22:23], v[96:97]
	v_fma_f64 v[96:97], v[155:156], s[22:23], -v[96:97]
	v_fma_f64 v[104:105], v[155:156], s[36:37], v[98:99]
	v_fma_f64 v[98:99], v[155:156], s[36:37], -v[98:99]
	v_fma_f64 v[155:156], v[151:152], s[28:29], -v[112:113]
	v_fma_f64 v[112:113], v[151:152], s[28:29], v[112:113]
	v_add_f64 v[151:152], v[80:81], v[153:154]
	v_add_f64 v[106:107], v[82:83], v[106:107]
	;; [unrolled: 1-line block ×4, first 2 shown]
	v_add_f64 v[92:93], v[177:178], -v[92:93]
	v_add_f64 v[94:95], v[94:95], v[173:174]
	v_mul_f64 v[88:89], v[143:144], s[24:25]
	v_mul_f64 v[84:85], v[171:172], s[34:35]
	v_add_f64 v[102:103], v[82:83], v[102:103]
	v_add_f64 v[96:97], v[82:83], v[96:97]
	;; [unrolled: 1-line block ×4, first 2 shown]
	v_mul_f64 v[90:91], v[139:140], s[8:9]
	v_mul_f64 v[86:87], v[159:160], s[30:31]
	v_add_f64 v[104:105], v[82:83], v[104:105]
	v_add_f64 v[98:99], v[82:83], v[98:99]
	;; [unrolled: 1-line block ×3, first 2 shown]
	v_mul_f64 v[177:178], v[195:196], s[16:17]
	v_add_f64 v[157:158], v[157:158], v[76:77]
	v_add_f64 v[92:93], v[82:83], v[92:93]
	;; [unrolled: 1-line block ×3, first 2 shown]
	v_add_f64 v[88:89], v[169:170], -v[88:89]
	v_mul_f64 v[82:83], v[183:184], s[40:41]
	v_add_f64 v[84:85], v[199:200], -v[84:85]
	v_mul_f64 v[80:81], v[195:196], s[44:45]
	v_add_f64 v[155:156], v[155:156], v[78:79]
	v_add_f64 v[90:91], v[90:91], v[167:168]
	v_mul_f64 v[167:168], v[149:150], s[28:29]
	v_add_f64 v[86:87], v[189:190], -v[86:87]
	v_add_f64 v[88:89], v[88:89], v[92:93]
	v_mul_f64 v[92:93], v[163:164], s[22:23]
	v_add_f64 v[82:83], v[203:204], -v[82:83]
	v_add_f64 v[80:81], v[207:208], -v[80:81]
	v_add_f64 v[90:91], v[90:91], v[94:95]
	v_add_f64 v[167:168], v[167:168], v[187:188]
	v_mul_f64 v[187:188], v[193:194], s[16:17]
	v_add_f64 v[86:87], v[86:87], v[88:89]
	v_add_f64 v[92:93], v[92:93], v[197:198]
	;; [unrolled: 1-line block ×3, first 2 shown]
	v_mul_f64 v[90:91], v[179:180], s[20:21]
	v_add_f64 v[84:85], v[84:85], v[86:87]
	v_add_f64 v[86:87], v[92:93], v[88:89]
	v_add_f64 v[90:91], v[90:91], v[201:202]
	v_mul_f64 v[88:89], v[191:192], s[36:37]
	v_mul_f64 v[92:93], v[159:160], s[46:47]
	v_add_f64 v[82:83], v[82:83], v[84:85]
	v_add_f64 v[84:85], v[90:91], v[86:87]
	;; [unrolled: 1-line block ×3, first 2 shown]
	v_mul_f64 v[90:91], v[141:142], s[18:19]
	v_fma_f64 v[94:95], v[145:146], s[2:3], v[92:93]
	v_fma_f64 v[92:93], v[145:146], s[2:3], -v[92:93]
	v_add_f64 v[82:83], v[80:81], v[82:83]
	v_add_f64 v[80:81], v[88:89], v[84:85]
	v_mul_f64 v[88:89], v[143:144], s[18:19]
	v_fma_f64 v[86:87], v[139:140], s[20:21], -v[90:91]
	v_fma_f64 v[90:91], v[139:140], s[20:21], v[90:91]
	v_fma_f64 v[84:85], v[137:138], s[20:21], v[88:89]
	v_add_f64 v[86:87], v[86:87], v[114:115]
	v_fma_f64 v[88:89], v[137:138], s[20:21], -v[88:89]
	v_add_f64 v[90:91], v[90:91], v[108:109]
	v_add_f64 v[84:85], v[84:85], v[102:103]
	;; [unrolled: 1-line block ×3, first 2 shown]
	v_mul_f64 v[96:97], v[143:144], s[10:11]
	v_add_f64 v[84:85], v[94:95], v[84:85]
	v_mul_f64 v[94:95], v[147:148], s[46:47]
	v_add_f64 v[88:89], v[92:93], v[88:89]
	v_fma_f64 v[76:77], v[137:138], s[2:3], -v[96:97]
	v_fma_f64 v[102:103], v[149:150], s[2:3], -v[94:95]
	v_fma_f64 v[92:93], v[149:150], s[2:3], v[94:95]
	v_fma_f64 v[94:95], v[191:192], s[8:9], v[187:188]
	v_add_f64 v[76:77], v[76:77], v[98:99]
	v_add_f64 v[86:87], v[102:103], v[86:87]
	v_mul_f64 v[102:103], v[171:172], s[30:31]
	v_add_f64 v[90:91], v[92:93], v[90:91]
	v_fma_f64 v[114:115], v[161:162], s[28:29], v[102:103]
	v_fma_f64 v[92:93], v[161:162], s[28:29], -v[102:103]
	v_mul_f64 v[102:103], v[141:142], s[10:11]
	v_add_f64 v[84:85], v[114:115], v[84:85]
	v_mul_f64 v[114:115], v[165:166], s[30:31]
	v_add_f64 v[88:89], v[92:93], v[88:89]
	v_fma_f64 v[78:79], v[139:140], s[2:3], v[102:103]
	v_fma_f64 v[167:168], v[163:164], s[28:29], -v[114:115]
	v_fma_f64 v[92:93], v[163:164], s[28:29], v[114:115]
	v_add_f64 v[78:79], v[78:79], v[110:111]
	v_add_f64 v[86:87], v[167:168], v[86:87]
	v_mul_f64 v[167:168], v[183:184], s[38:39]
	v_add_f64 v[90:91], v[92:93], v[90:91]
	v_fma_f64 v[169:170], v[175:176], s[36:37], v[167:168]
	v_fma_f64 v[92:93], v[175:176], s[36:37], -v[167:168]
	v_add_f64 v[84:85], v[169:170], v[84:85]
	v_mul_f64 v[169:170], v[181:182], s[38:39]
	v_add_f64 v[88:89], v[92:93], v[88:89]
	v_fma_f64 v[92:93], v[179:180], s[36:37], v[169:170]
	v_fma_f64 v[173:174], v[179:180], s[36:37], -v[169:170]
	v_add_f64 v[92:93], v[92:93], v[90:91]
	v_fma_f64 v[90:91], v[185:186], s[8:9], -v[177:178]
	v_add_f64 v[173:174], v[173:174], v[86:87]
	v_fma_f64 v[86:87], v[185:186], s[8:9], v[177:178]
	v_mul_f64 v[177:178], v[195:196], s[30:31]
	v_add_f64 v[90:91], v[90:91], v[88:89]
	v_add_f64 v[88:89], v[94:95], v[92:93]
	v_fma_f64 v[92:93], v[137:138], s[2:3], v[96:97]
	v_fma_f64 v[94:95], v[139:140], s[2:3], -v[102:103]
	v_add_f64 v[86:87], v[86:87], v[84:85]
	v_fma_f64 v[84:85], v[191:192], s[8:9], -v[187:188]
	v_mul_f64 v[187:188], v[193:194], s[30:31]
	v_mul_f64 v[102:103], v[143:144], s[38:39]
	v_add_f64 v[92:93], v[92:93], v[104:105]
	v_mul_f64 v[104:105], v[159:160], s[18:19]
	v_add_f64 v[94:95], v[94:95], v[151:152]
	v_add_f64 v[84:85], v[84:85], v[173:174]
	v_fma_f64 v[98:99], v[191:192], s[28:29], v[187:188]
	v_fma_f64 v[108:109], v[145:146], s[20:21], v[104:105]
	v_fma_f64 v[96:97], v[145:146], s[20:21], -v[104:105]
	v_mul_f64 v[104:105], v[159:160], s[34:35]
	v_add_f64 v[92:93], v[108:109], v[92:93]
	v_mul_f64 v[108:109], v[147:148], s[18:19]
	v_add_f64 v[76:77], v[96:97], v[76:77]
	v_fma_f64 v[114:115], v[149:150], s[20:21], -v[108:109]
	v_fma_f64 v[96:97], v[149:150], s[20:21], v[108:109]
	v_fma_f64 v[108:109], v[145:146], s[22:23], -v[104:105]
	v_add_f64 v[94:95], v[114:115], v[94:95]
	v_mul_f64 v[114:115], v[171:172], s[24:25]
	v_add_f64 v[78:79], v[96:97], v[78:79]
	v_fma_f64 v[151:152], v[161:162], s[8:9], v[114:115]
	v_fma_f64 v[96:97], v[161:162], s[8:9], -v[114:115]
	v_add_f64 v[92:93], v[151:152], v[92:93]
	v_mul_f64 v[151:152], v[165:166], s[24:25]
	v_add_f64 v[76:77], v[96:97], v[76:77]
	v_fma_f64 v[167:168], v[163:164], s[8:9], -v[151:152]
	v_fma_f64 v[96:97], v[163:164], s[8:9], v[151:152]
	v_mul_f64 v[151:152], v[193:194], s[18:19]
	v_add_f64 v[94:95], v[167:168], v[94:95]
	v_mul_f64 v[167:168], v[183:184], s[26:27]
	v_add_f64 v[78:79], v[96:97], v[78:79]
	v_fma_f64 v[169:170], v[175:176], s[22:23], v[167:168]
	v_fma_f64 v[96:97], v[175:176], s[22:23], -v[167:168]
	v_add_f64 v[92:93], v[169:170], v[92:93]
	v_mul_f64 v[169:170], v[181:182], s[26:27]
	v_add_f64 v[76:77], v[96:97], v[76:77]
	v_fma_f64 v[96:97], v[179:180], s[22:23], v[169:170]
	v_fma_f64 v[173:174], v[179:180], s[22:23], -v[169:170]
	v_add_f64 v[96:97], v[96:97], v[78:79]
	v_fma_f64 v[78:79], v[185:186], s[28:29], -v[177:178]
	v_add_f64 v[173:174], v[173:174], v[94:95]
	v_fma_f64 v[94:95], v[185:186], s[28:29], v[177:178]
	v_add_f64 v[78:79], v[78:79], v[76:77]
	v_add_f64 v[76:77], v[98:99], v[96:97]
	;; [unrolled: 1-line block ×3, first 2 shown]
	v_fma_f64 v[8:9], v[137:138], s[36:37], -v[102:103]
	v_add_f64 v[96:97], v[155:156], v[10:11]
	v_add_f64 v[94:95], v[94:95], v[92:93]
	v_fma_f64 v[92:93], v[191:192], s[28:29], -v[187:188]
	v_add_f64 v[98:99], v[98:99], v[4:5]
	v_add_f64 v[8:9], v[8:9], v[100:101]
	v_mul_f64 v[100:101], v[141:142], s[38:39]
	v_add_f64 v[96:97], v[96:97], v[6:7]
	v_fma_f64 v[4:5], v[137:138], s[36:37], v[102:103]
	v_add_f64 v[92:93], v[92:93], v[173:174]
	v_add_f64 v[0:1], v[98:99], v[0:1]
	;; [unrolled: 1-line block ×3, first 2 shown]
	v_fma_f64 v[10:11], v[139:140], s[36:37], v[100:101]
	v_mul_f64 v[108:109], v[147:148], s[34:35]
	v_fma_f64 v[6:7], v[139:140], s[36:37], -v[100:101]
	v_fma_f64 v[100:101], v[145:146], s[22:23], v[104:105]
	v_add_f64 v[4:5], v[4:5], v[106:107]
	v_mul_f64 v[147:148], v[195:196], s[18:19]
	v_add_f64 v[2:3], v[96:97], v[2:3]
	v_and_b32_e32 v96, 0xffff, v211
	v_lshl_add_u32 v96, v96, 4, v223
	v_add_f64 v[10:11], v[10:11], v[112:113]
	v_fma_f64 v[110:111], v[149:150], s[22:23], v[108:109]
	v_fma_f64 v[102:103], v[149:150], s[22:23], -v[108:109]
	v_add_f64 v[6:7], v[6:7], v[153:154]
	v_add_f64 v[4:5], v[100:101], v[4:5]
	;; [unrolled: 1-line block ×3, first 2 shown]
	v_mul_f64 v[110:111], v[171:172], s[10:11]
	v_add_f64 v[6:7], v[102:103], v[6:7]
	v_fma_f64 v[112:113], v[161:162], s[2:3], -v[110:111]
	v_fma_f64 v[104:105], v[161:162], s[2:3], v[110:111]
	v_add_f64 v[8:9], v[112:113], v[8:9]
	v_mul_f64 v[112:113], v[165:166], s[10:11]
	v_add_f64 v[4:5], v[104:105], v[4:5]
	v_fma_f64 v[104:105], v[185:186], s[20:21], v[147:148]
	v_fma_f64 v[114:115], v[163:164], s[2:3], v[112:113]
	v_fma_f64 v[106:107], v[163:164], s[2:3], -v[112:113]
	v_add_f64 v[10:11], v[114:115], v[10:11]
	v_mul_f64 v[114:115], v[183:184], s[16:17]
	v_add_f64 v[6:7], v[106:107], v[6:7]
	v_fma_f64 v[106:107], v[191:192], s[20:21], -v[151:152]
	v_fma_f64 v[141:142], v[175:176], s[8:9], -v[114:115]
	v_fma_f64 v[100:101], v[175:176], s[8:9], v[114:115]
	v_add_f64 v[8:9], v[141:142], v[8:9]
	v_mul_f64 v[141:142], v[181:182], s[16:17]
	v_add_f64 v[4:5], v[100:101], v[4:5]
	v_fma_f64 v[143:144], v[179:180], s[8:9], v[141:142]
	v_fma_f64 v[102:103], v[179:180], s[8:9], -v[141:142]
	v_add_f64 v[143:144], v[143:144], v[10:11]
	v_fma_f64 v[10:11], v[185:186], s[20:21], -v[147:148]
	v_add_f64 v[100:101], v[102:103], v[6:7]
	v_add_f64 v[6:7], v[104:105], v[4:5]
	;; [unrolled: 1-line block ×3, first 2 shown]
	v_fma_f64 v[8:9], v[191:192], s[20:21], v[151:152]
	v_add_f64 v[4:5], v[106:107], v[100:101]
	v_add_f64 v[8:9], v[8:9], v[143:144]
	ds_write_b128 v96, v[116:119] offset:80
	ds_write_b128 v96, v[120:123] offset:96
	ds_write_b128 v96, v[124:127] offset:112
	ds_write_b128 v96, v[128:131] offset:128
	ds_write_b128 v96, v[132:135] offset:144
	ds_write_b128 v96, v[8:11] offset:16
	ds_write_b128 v96, v[76:79] offset:32
	ds_write_b128 v96, v[88:91] offset:48
	ds_write_b128 v96, v[80:83] offset:64
	ds_write_b128 v96, v[84:87] offset:160
	ds_write_b128 v96, v[92:95] offset:176
	ds_write_b128 v96, v[0:3]
	ds_write_b128 v96, v[4:7] offset:192
.LBB0_17:
	s_or_b32 exec_lo, exec_lo, s1
	s_waitcnt lgkmcnt(0)
	s_barrier
	buffer_gl0_inv
	ds_read_b128 v[0:3], v209
	ds_read_b128 v[80:83], v209 offset:1872
	ds_read_b128 v[4:7], v209 offset:3744
	;; [unrolled: 1-line block ×4, first 2 shown]
	s_and_saveexec_b32 s1, s0
	s_cbranch_execz .LBB0_19
; %bb.18:
	ds_read_b128 v[116:119], v209 offset:1040
	ds_read_b128 v[120:123], v209 offset:2912
	;; [unrolled: 1-line block ×5, first 2 shown]
.LBB0_19:
	s_or_b32 exec_lo, exec_lo, s1
	s_waitcnt lgkmcnt(3)
	v_mul_f64 v[84:85], v[42:43], v[82:83]
	s_waitcnt lgkmcnt(2)
	v_mul_f64 v[86:87], v[34:35], v[6:7]
	;; [unrolled: 2-line block ×3, first 2 shown]
	v_mul_f64 v[42:43], v[42:43], v[80:81]
	s_waitcnt lgkmcnt(0)
	v_mul_f64 v[90:91], v[38:39], v[78:79]
	v_mul_f64 v[34:35], v[34:35], v[4:5]
	;; [unrolled: 1-line block ×4, first 2 shown]
	s_mov_b32 s2, 0x134454ff
	s_mov_b32 s3, 0xbfee6f0e
	;; [unrolled: 1-line block ×10, first 2 shown]
	s_barrier
	buffer_gl0_inv
	v_fma_f64 v[80:81], v[40:41], v[80:81], v[84:85]
	v_fma_f64 v[4:5], v[32:33], v[4:5], v[86:87]
	;; [unrolled: 1-line block ×3, first 2 shown]
	v_fma_f64 v[40:41], v[40:41], v[82:83], -v[42:43]
	v_fma_f64 v[42:43], v[36:37], v[76:77], v[90:91]
	v_fma_f64 v[6:7], v[32:33], v[6:7], -v[34:35]
	v_fma_f64 v[10:11], v[28:29], v[10:11], -v[30:31]
	;; [unrolled: 1-line block ×3, first 2 shown]
	v_add_f64 v[38:39], v[0:1], v[80:81]
	v_add_f64 v[30:31], v[4:5], v[8:9]
	;; [unrolled: 1-line block ×4, first 2 shown]
	v_add_f64 v[84:85], v[80:81], -v[42:43]
	v_add_f64 v[34:35], v[6:7], v[10:11]
	v_add_f64 v[36:37], v[40:41], v[28:29]
	v_add_f64 v[76:77], v[40:41], -v[28:29]
	v_add_f64 v[78:79], v[6:7], -v[10:11]
	;; [unrolled: 1-line block ×8, first 2 shown]
	v_fma_f64 v[30:31], v[30:31], -0.5, v[0:1]
	v_add_f64 v[6:7], v[82:83], v[6:7]
	v_fma_f64 v[0:1], v[32:33], -0.5, v[0:1]
	v_add_f64 v[32:33], v[4:5], -v[8:9]
	v_fma_f64 v[34:35], v[34:35], -0.5, v[2:3]
	v_fma_f64 v[2:3], v[36:37], -0.5, v[2:3]
	v_add_f64 v[36:37], v[80:81], -v[4:5]
	v_add_f64 v[80:81], v[4:5], -v[80:81]
	v_add_f64 v[4:5], v[38:39], v[4:5]
	v_add_f64 v[40:41], v[40:41], v[94:95]
	v_fma_f64 v[38:39], v[76:77], s[2:3], v[30:31]
	v_fma_f64 v[30:31], v[76:77], s[8:9], v[30:31]
	;; [unrolled: 1-line block ×8, first 2 shown]
	v_add_f64 v[4:5], v[4:5], v[8:9]
	v_add_f64 v[6:7], v[6:7], v[10:11]
	;; [unrolled: 1-line block ×5, first 2 shown]
	v_fma_f64 v[8:9], v[78:79], s[16:17], v[38:39]
	v_fma_f64 v[10:11], v[78:79], s[10:11], v[30:31]
	;; [unrolled: 1-line block ×8, first 2 shown]
	v_add_f64 v[0:1], v[4:5], v[42:43]
	v_add_f64 v[2:3], v[6:7], v[28:29]
	v_fma_f64 v[4:5], v[36:37], s[18:19], v[8:9]
	v_fma_f64 v[8:9], v[36:37], s[18:19], v[10:11]
	;; [unrolled: 1-line block ×8, first 2 shown]
	ds_write_b128 v214, v[0:3]
	ds_write_b128 v214, v[4:7] offset:208
	ds_write_b128 v214, v[28:31] offset:416
	;; [unrolled: 1-line block ×4, first 2 shown]
	s_and_saveexec_b32 s1, s0
	s_cbranch_execz .LBB0_21
; %bb.20:
	v_mul_f64 v[0:1], v[18:19], v[124:125]
	v_mul_f64 v[2:3], v[26:27], v[120:121]
	;; [unrolled: 1-line block ×8, first 2 shown]
	v_fma_f64 v[0:1], v[16:17], v[126:127], -v[0:1]
	v_fma_f64 v[2:3], v[24:25], v[122:123], -v[2:3]
	;; [unrolled: 1-line block ×4, first 2 shown]
	v_fma_f64 v[8:9], v[16:17], v[124:125], v[8:9]
	v_fma_f64 v[10:11], v[12:13], v[128:129], v[10:11]
	;; [unrolled: 1-line block ×4, first 2 shown]
	v_add_f64 v[28:29], v[118:119], v[2:3]
	v_add_f64 v[16:17], v[2:3], v[4:5]
	;; [unrolled: 1-line block ×3, first 2 shown]
	v_add_f64 v[32:33], v[2:3], -v[4:5]
	v_add_f64 v[20:21], v[8:9], v[10:11]
	v_add_f64 v[30:31], v[116:117], v[12:13]
	;; [unrolled: 1-line block ×3, first 2 shown]
	v_add_f64 v[24:25], v[8:9], -v[10:11]
	v_add_f64 v[26:27], v[12:13], -v[14:15]
	v_add_f64 v[34:35], v[0:1], -v[6:7]
	v_add_f64 v[36:37], v[0:1], -v[2:3]
	v_add_f64 v[2:3], v[2:3], -v[0:1]
	v_add_f64 v[42:43], v[8:9], -v[12:13]
	v_add_f64 v[12:13], v[12:13], -v[8:9]
	v_add_f64 v[38:39], v[6:7], -v[4:5]
	v_add_f64 v[40:41], v[4:5], -v[6:7]
	v_add_f64 v[78:79], v[14:15], -v[10:11]
	v_add_f64 v[76:77], v[10:11], -v[14:15]
	v_add_f64 v[0:1], v[28:29], v[0:1]
	v_fma_f64 v[16:17], v[16:17], -0.5, v[118:119]
	v_fma_f64 v[18:19], v[18:19], -0.5, v[118:119]
	;; [unrolled: 1-line block ×3, first 2 shown]
	v_add_f64 v[8:9], v[30:31], v[8:9]
	v_fma_f64 v[22:23], v[22:23], -0.5, v[116:117]
	v_add_f64 v[36:37], v[36:37], v[38:39]
	v_add_f64 v[38:39], v[2:3], v[40:41]
	;; [unrolled: 1-line block ×5, first 2 shown]
	v_fma_f64 v[28:29], v[24:25], s[8:9], v[16:17]
	v_fma_f64 v[16:17], v[24:25], s[2:3], v[16:17]
	;; [unrolled: 1-line block ×8, first 2 shown]
	v_add_f64 v[6:7], v[8:9], v[10:11]
	v_add_f64 v[2:3], v[0:1], v[4:5]
	v_fma_f64 v[8:9], v[26:27], s[16:17], v[28:29]
	v_fma_f64 v[10:11], v[26:27], s[10:11], v[16:17]
	;; [unrolled: 1-line block ×8, first 2 shown]
	v_add_f64 v[0:1], v[6:7], v[14:15]
	v_mov_b32_e32 v28, 0x41
	v_fma_f64 v[6:7], v[36:37], s[18:19], v[8:9]
	v_fma_f64 v[10:11], v[36:37], s[18:19], v[10:11]
	;; [unrolled: 1-line block ×8, first 2 shown]
	v_mul_u32_u24_sdwa v20, v212, v28 dst_sel:DWORD dst_unused:UNUSED_PAD src0_sel:WORD_0 src1_sel:DWORD
	v_add_nc_u32_sdwa v20, v20, v213 dst_sel:DWORD dst_unused:UNUSED_PAD src0_sel:DWORD src1_sel:BYTE_0
	v_lshl_add_u32 v20, v20, 4, v223
	ds_write_b128 v20, v[0:3]
	ds_write_b128 v20, v[16:19] offset:208
	ds_write_b128 v20, v[8:11] offset:416
	;; [unrolled: 1-line block ×4, first 2 shown]
.LBB0_21:
	s_or_b32 exec_lo, exec_lo, s1
	s_waitcnt lgkmcnt(0)
	s_barrier
	buffer_gl0_inv
	ds_read_b128 v[0:3], v209 offset:1040
	ds_read_b128 v[4:7], v209 offset:8320
	ds_read_b128 v[8:11], v209 offset:4160
	ds_read_b128 v[12:15], v209 offset:5200
	ds_read_b128 v[16:19], v209 offset:2080
	ds_read_b128 v[20:23], v209 offset:7280
	ds_read_b128 v[24:27], v209 offset:3120
	ds_read_b128 v[28:31], v209 offset:6240
	s_mov_b32 s2, 0x8c811c17
	s_mov_b32 s8, 0xa2cf5039
	;; [unrolled: 1-line block ×8, first 2 shown]
	s_waitcnt lgkmcnt(7)
	v_mul_f64 v[32:33], v[54:55], v[2:3]
	v_mul_f64 v[34:35], v[54:55], v[0:1]
	s_waitcnt lgkmcnt(6)
	v_mul_f64 v[36:37], v[62:63], v[6:7]
	v_mul_f64 v[38:39], v[62:63], v[4:5]
	;; [unrolled: 3-line block ×6, first 2 shown]
	v_fma_f64 v[32:33], v[52:53], v[0:1], v[32:33]
	v_fma_f64 v[34:35], v[52:53], v[2:3], -v[34:35]
	ds_read_b128 v[0:3], v209
	v_fma_f64 v[4:5], v[60:61], v[4:5], v[36:37]
	v_fma_f64 v[6:7], v[60:61], v[6:7], -v[38:39]
	v_fma_f64 v[8:9], v[56:57], v[8:9], v[40:41]
	v_fma_f64 v[10:11], v[56:57], v[10:11], -v[42:43]
	;; [unrolled: 2-line block ×5, first 2 shown]
	s_waitcnt lgkmcnt(2)
	v_mul_f64 v[36:37], v[50:51], v[26:27]
	v_mul_f64 v[38:39], v[50:51], v[24:25]
	s_waitcnt lgkmcnt(1)
	v_mul_f64 v[40:41], v[46:47], v[30:31]
	v_mul_f64 v[42:43], v[46:47], v[28:29]
	v_add_f64 v[46:47], v[32:33], -v[4:5]
	v_add_f64 v[50:51], v[34:35], -v[6:7]
	v_add_f64 v[4:5], v[32:33], v[4:5]
	v_add_f64 v[6:7], v[34:35], v[6:7]
	;; [unrolled: 1-line block ×4, first 2 shown]
	v_add_f64 v[52:53], v[8:9], -v[12:13]
	v_add_f64 v[54:55], v[10:11], -v[14:15]
	v_add_f64 v[56:57], v[16:17], v[20:21]
	v_add_f64 v[58:59], v[18:19], v[22:23]
	v_fma_f64 v[24:25], v[48:49], v[24:25], v[36:37]
	v_fma_f64 v[26:27], v[48:49], v[26:27], -v[38:39]
	v_fma_f64 v[28:29], v[44:45], v[28:29], v[40:41]
	v_fma_f64 v[30:31], v[44:45], v[30:31], -v[42:43]
	v_add_f64 v[16:17], v[16:17], -v[20:21]
	v_add_f64 v[18:19], v[18:19], -v[22:23]
	v_mul_f64 v[20:21], v[46:47], s[0:1]
	v_mul_f64 v[22:23], v[50:51], s[0:1]
	s_waitcnt lgkmcnt(0)
	v_fma_f64 v[36:37], v[4:5], s[8:9], v[0:1]
	v_fma_f64 v[38:39], v[6:7], s[8:9], v[2:3]
	s_mov_b32 s1, 0xbfe491b7
	v_fma_f64 v[40:41], v[32:33], s[8:9], v[0:1]
	v_fma_f64 v[42:43], v[34:35], s[8:9], v[2:3]
	v_mul_f64 v[44:45], v[52:53], s[2:3]
	v_mul_f64 v[48:49], v[54:55], s[2:3]
	v_fma_f64 v[60:61], v[56:57], s[8:9], v[0:1]
	v_fma_f64 v[62:63], v[58:59], s[8:9], v[2:3]
	v_mul_f64 v[64:65], v[54:55], s[0:1]
	v_mul_f64 v[66:67], v[52:53], s[0:1]
	v_add_f64 v[68:69], v[24:25], v[28:29]
	v_add_f64 v[70:71], v[26:27], v[30:31]
	;; [unrolled: 1-line block ×4, first 2 shown]
	v_add_f64 v[24:25], v[24:25], -v[28:29]
	v_add_f64 v[26:27], v[26:27], -v[30:31]
	s_mov_b32 s8, 0xe8584cab
	s_mov_b32 s9, 0x3febb67a
	v_fma_f64 v[20:21], v[16:17], s[2:3], v[20:21]
	v_fma_f64 v[22:23], v[18:19], s[2:3], v[22:23]
	;; [unrolled: 1-line block ×6, first 2 shown]
	v_fma_f64 v[40:41], v[16:17], s[0:1], -v[44:45]
	v_fma_f64 v[42:43], v[18:19], s[0:1], -v[48:49]
	v_fma_f64 v[44:45], v[32:33], s[10:11], v[60:61]
	v_fma_f64 v[48:49], v[34:35], s[10:11], v[62:63]
	;; [unrolled: 1-line block ×4, first 2 shown]
	v_add_f64 v[64:65], v[52:53], v[46:47]
	v_add_f64 v[66:67], v[54:55], v[50:51]
	;; [unrolled: 1-line block ×8, first 2 shown]
	s_mov_b32 s1, 0xbfebb67a
	s_mov_b32 s0, s8
	v_fma_f64 v[20:21], v[24:25], s[8:9], v[20:21]
	v_fma_f64 v[22:23], v[26:27], s[8:9], v[22:23]
	v_fma_f64 v[28:29], v[68:69], -0.5, v[28:29]
	v_fma_f64 v[30:31], v[70:71], -0.5, v[30:31]
	v_fma_f64 v[36:37], v[68:69], -0.5, v[36:37]
	v_fma_f64 v[38:39], v[70:71], -0.5, v[38:39]
	v_fma_f64 v[40:41], v[24:25], s[8:9], v[40:41]
	v_fma_f64 v[42:43], v[26:27], s[8:9], v[42:43]
	v_fma_f64 v[44:45], v[68:69], -0.5, v[44:45]
	v_fma_f64 v[48:49], v[70:71], -0.5, v[48:49]
	v_fma_f64 v[26:27], v[26:27], s[0:1], v[60:61]
	v_fma_f64 v[24:25], v[24:25], s[0:1], v[62:63]
	s_mov_b32 s2, 0x748a0bf8
	s_mov_b32 s10, 0x42522d1b
	;; [unrolled: 1-line block ×4, first 2 shown]
	v_add_f64 v[8:9], v[8:9], v[72:73]
	v_add_f64 v[10:11], v[10:11], v[74:75]
	v_add_f64 v[60:61], v[64:65], -v[16:17]
	v_add_f64 v[62:63], v[66:67], -v[18:19]
	v_fma_f64 v[64:65], v[80:81], -0.5, v[76:77]
	v_fma_f64 v[66:67], v[82:83], -0.5, v[78:79]
	v_fma_f64 v[52:53], v[52:53], s[2:3], v[20:21]
	v_fma_f64 v[54:55], v[54:55], s[2:3], v[22:23]
	;; [unrolled: 1-line block ×12, first 2 shown]
	v_add_f64 v[44:45], v[12:13], v[8:9]
	v_add_f64 v[46:47], v[14:15], v[10:11]
	v_mul_f64 v[24:25], v[60:61], s[8:9]
	v_mul_f64 v[26:27], v[62:63], s[8:9]
	v_fma_f64 v[4:5], v[62:63], s[0:1], v[64:65]
	v_fma_f64 v[6:7], v[60:61], s[8:9], v[66:67]
	v_add_f64 v[8:9], v[20:21], -v[54:55]
	v_add_f64 v[10:11], v[52:53], v[22:23]
	v_add_f64 v[12:13], v[36:37], -v[34:35]
	v_add_f64 v[14:15], v[32:33], v[38:39]
	;; [unrolled: 2-line block ×3, first 2 shown]
	v_add_f64 v[0:1], v[0:1], v[44:45]
	v_add_f64 v[2:3], v[2:3], v[46:47]
	v_fma_f64 v[20:21], v[26:27], 2.0, v[4:5]
	v_fma_f64 v[22:23], v[24:25], -2.0, v[6:7]
	v_fma_f64 v[24:25], v[54:55], 2.0, v[8:9]
	v_fma_f64 v[26:27], v[52:53], -2.0, v[10:11]
	;; [unrolled: 2-line block ×4, first 2 shown]
	ds_write_b128 v210, v[4:7] offset:3120
	ds_write_b128 v210, v[0:3]
	ds_write_b128 v210, v[8:11] offset:1040
	ds_write_b128 v210, v[12:15] offset:4160
	;; [unrolled: 1-line block ×7, first 2 shown]
	s_waitcnt lgkmcnt(0)
	s_barrier
	buffer_gl0_inv
	s_and_b32 exec_lo, exec_lo, vcc_lo
	s_cbranch_execz .LBB0_23
; %bb.22:
	v_add_co_u32 v0, s0, s14, v222
	v_add_co_ci_u32_e64 v1, null, s15, 0, s0
	s_clause 0x2
	global_load_dwordx4 v[2:5], v222, s[14:15]
	global_load_dwordx4 v[6:9], v222, s[14:15] offset:720
	global_load_dwordx4 v[10:13], v222, s[14:15] offset:1440
	v_add_co_u32 v22, vcc_lo, 0x800, v0
	v_add_co_ci_u32_e32 v23, vcc_lo, 0, v1, vcc_lo
	v_add_co_u32 v34, vcc_lo, 0x1000, v0
	v_add_co_ci_u32_e32 v35, vcc_lo, 0, v1, vcc_lo
	s_clause 0x3
	global_load_dwordx4 v[14:17], v[22:23], off offset:112
	global_load_dwordx4 v[18:21], v[22:23], off offset:832
	global_load_dwordx4 v[22:25], v[22:23], off offset:1552
	global_load_dwordx4 v[26:29], v[34:35], off offset:224
	v_add_co_u32 v46, vcc_lo, 0x1800, v0
	v_add_co_ci_u32_e32 v47, vcc_lo, 0, v1, vcc_lo
	s_clause 0x4
	global_load_dwordx4 v[30:33], v[34:35], off offset:944
	global_load_dwordx4 v[34:37], v[34:35], off offset:1664
	global_load_dwordx4 v[38:41], v[46:47], off offset:336
	global_load_dwordx4 v[42:45], v[46:47], off offset:1056
	global_load_dwordx4 v[46:49], v[46:47], off offset:1776
	v_mad_u64_u32 v[50:51], null, s6, v136, 0
	v_mad_u64_u32 v[52:53], null, s4, v221, 0
	s_mul_i32 s0, s5, 0x2d0
	s_mul_hi_u32 s1, s4, 0x2d0
	s_mul_i32 s2, s4, 0x2d0
	s_add_i32 s3, s1, s0
	s_mov_b32 s0, 0x1c01c01c
	s_mov_b32 s1, 0x3f5c01c0
	v_mad_u64_u32 v[54:55], null, s7, v136, v[51:52]
	v_mad_u64_u32 v[55:56], null, s5, v221, v[53:54]
	v_mov_b32_e32 v51, v54
	v_lshlrev_b64 v[50:51], 4, v[50:51]
	v_mov_b32_e32 v53, v55
	v_lshlrev_b64 v[52:53], 4, v[52:53]
	v_add_co_u32 v50, vcc_lo, s12, v50
	v_add_co_ci_u32_e32 v51, vcc_lo, s13, v51, vcc_lo
	v_add_co_u32 v98, vcc_lo, v50, v52
	v_add_co_ci_u32_e32 v99, vcc_lo, v51, v53, vcc_lo
	ds_read_b128 v[50:53], v210
	ds_read_b128 v[54:57], v210 offset:720
	ds_read_b128 v[58:61], v210 offset:1440
	;; [unrolled: 1-line block ×11, first 2 shown]
	v_add_co_u32 v100, vcc_lo, v98, s2
	v_add_co_ci_u32_e32 v101, vcc_lo, s3, v99, vcc_lo
	v_add_co_u32 v102, vcc_lo, v100, s2
	v_add_co_ci_u32_e32 v103, vcc_lo, s3, v101, vcc_lo
	;; [unrolled: 2-line block ×9, first 2 shown]
	s_waitcnt vmcnt(11) lgkmcnt(11)
	v_mul_f64 v[118:119], v[52:53], v[4:5]
	v_mul_f64 v[4:5], v[50:51], v[4:5]
	s_waitcnt vmcnt(10) lgkmcnt(10)
	v_mul_f64 v[120:121], v[56:57], v[8:9]
	v_mul_f64 v[8:9], v[54:55], v[8:9]
	;; [unrolled: 3-line block ×12, first 2 shown]
	v_fma_f64 v[50:51], v[50:51], v[2:3], v[118:119]
	v_fma_f64 v[4:5], v[2:3], v[52:53], -v[4:5]
	v_fma_f64 v[52:53], v[54:55], v[6:7], v[120:121]
	v_fma_f64 v[8:9], v[6:7], v[56:57], -v[8:9]
	;; [unrolled: 2-line block ×12, first 2 shown]
	v_mul_f64 v[2:3], v[50:51], s[0:1]
	v_mul_f64 v[4:5], v[4:5], s[0:1]
	;; [unrolled: 1-line block ×24, first 2 shown]
	v_add_co_u32 v50, vcc_lo, v116, s2
	v_add_co_ci_u32_e32 v51, vcc_lo, s3, v117, vcc_lo
	v_add_co_u32 v0, vcc_lo, 0x2000, v0
	v_add_co_ci_u32_e32 v1, vcc_lo, 0, v1, vcc_lo
	;; [unrolled: 2-line block ×3, first 2 shown]
	global_store_dwordx4 v[98:99], v[2:5], off
	global_store_dwordx4 v[100:101], v[6:9], off
	;; [unrolled: 1-line block ×12, first 2 shown]
	global_load_dwordx4 v[0:3], v[0:1], off offset:448
	ds_read_b128 v[4:7], v210 offset:8640
	s_waitcnt vmcnt(0) lgkmcnt(0)
	v_mul_f64 v[8:9], v[6:7], v[2:3]
	v_mul_f64 v[2:3], v[4:5], v[2:3]
	v_fma_f64 v[4:5], v[4:5], v[0:1], v[8:9]
	v_fma_f64 v[2:3], v[0:1], v[6:7], -v[2:3]
	v_mul_f64 v[0:1], v[4:5], s[0:1]
	v_mul_f64 v[2:3], v[2:3], s[0:1]
	v_add_co_u32 v4, vcc_lo, v52, s2
	v_add_co_ci_u32_e32 v5, vcc_lo, s3, v53, vcc_lo
	global_store_dwordx4 v[4:5], v[0:3], off
.LBB0_23:
	s_endpgm
	.section	.rodata,"a",@progbits
	.p2align	6, 0x0
	.amdhsa_kernel bluestein_single_fwd_len585_dim1_dp_op_CI_CI
		.amdhsa_group_segment_fixed_size 28080
		.amdhsa_private_segment_fixed_size 0
		.amdhsa_kernarg_size 104
		.amdhsa_user_sgpr_count 6
		.amdhsa_user_sgpr_private_segment_buffer 1
		.amdhsa_user_sgpr_dispatch_ptr 0
		.amdhsa_user_sgpr_queue_ptr 0
		.amdhsa_user_sgpr_kernarg_segment_ptr 1
		.amdhsa_user_sgpr_dispatch_id 0
		.amdhsa_user_sgpr_flat_scratch_init 0
		.amdhsa_user_sgpr_private_segment_size 0
		.amdhsa_wavefront_size32 1
		.amdhsa_uses_dynamic_stack 0
		.amdhsa_system_sgpr_private_segment_wavefront_offset 0
		.amdhsa_system_sgpr_workgroup_id_x 1
		.amdhsa_system_sgpr_workgroup_id_y 0
		.amdhsa_system_sgpr_workgroup_id_z 0
		.amdhsa_system_sgpr_workgroup_info 0
		.amdhsa_system_vgpr_workitem_id 0
		.amdhsa_next_free_vgpr 247
		.amdhsa_next_free_sgpr 48
		.amdhsa_reserve_vcc 1
		.amdhsa_reserve_flat_scratch 0
		.amdhsa_float_round_mode_32 0
		.amdhsa_float_round_mode_16_64 0
		.amdhsa_float_denorm_mode_32 3
		.amdhsa_float_denorm_mode_16_64 3
		.amdhsa_dx10_clamp 1
		.amdhsa_ieee_mode 1
		.amdhsa_fp16_overflow 0
		.amdhsa_workgroup_processor_mode 1
		.amdhsa_memory_ordered 1
		.amdhsa_forward_progress 0
		.amdhsa_shared_vgpr_count 0
		.amdhsa_exception_fp_ieee_invalid_op 0
		.amdhsa_exception_fp_denorm_src 0
		.amdhsa_exception_fp_ieee_div_zero 0
		.amdhsa_exception_fp_ieee_overflow 0
		.amdhsa_exception_fp_ieee_underflow 0
		.amdhsa_exception_fp_ieee_inexact 0
		.amdhsa_exception_int_div_zero 0
	.end_amdhsa_kernel
	.text
.Lfunc_end0:
	.size	bluestein_single_fwd_len585_dim1_dp_op_CI_CI, .Lfunc_end0-bluestein_single_fwd_len585_dim1_dp_op_CI_CI
                                        ; -- End function
	.section	.AMDGPU.csdata,"",@progbits
; Kernel info:
; codeLenInByte = 17996
; NumSgprs: 50
; NumVgprs: 247
; ScratchSize: 0
; MemoryBound: 0
; FloatMode: 240
; IeeeMode: 1
; LDSByteSize: 28080 bytes/workgroup (compile time only)
; SGPRBlocks: 6
; VGPRBlocks: 30
; NumSGPRsForWavesPerEU: 50
; NumVGPRsForWavesPerEU: 247
; Occupancy: 4
; WaveLimiterHint : 1
; COMPUTE_PGM_RSRC2:SCRATCH_EN: 0
; COMPUTE_PGM_RSRC2:USER_SGPR: 6
; COMPUTE_PGM_RSRC2:TRAP_HANDLER: 0
; COMPUTE_PGM_RSRC2:TGID_X_EN: 1
; COMPUTE_PGM_RSRC2:TGID_Y_EN: 0
; COMPUTE_PGM_RSRC2:TGID_Z_EN: 0
; COMPUTE_PGM_RSRC2:TIDIG_COMP_CNT: 0
	.text
	.p2alignl 6, 3214868480
	.fill 48, 4, 3214868480
	.type	__hip_cuid_a9f474e98de6086a,@object ; @__hip_cuid_a9f474e98de6086a
	.section	.bss,"aw",@nobits
	.globl	__hip_cuid_a9f474e98de6086a
__hip_cuid_a9f474e98de6086a:
	.byte	0                               ; 0x0
	.size	__hip_cuid_a9f474e98de6086a, 1

	.ident	"AMD clang version 19.0.0git (https://github.com/RadeonOpenCompute/llvm-project roc-6.4.0 25133 c7fe45cf4b819c5991fe208aaa96edf142730f1d)"
	.section	".note.GNU-stack","",@progbits
	.addrsig
	.addrsig_sym __hip_cuid_a9f474e98de6086a
	.amdgpu_metadata
---
amdhsa.kernels:
  - .args:
      - .actual_access:  read_only
        .address_space:  global
        .offset:         0
        .size:           8
        .value_kind:     global_buffer
      - .actual_access:  read_only
        .address_space:  global
        .offset:         8
        .size:           8
        .value_kind:     global_buffer
      - .actual_access:  read_only
        .address_space:  global
        .offset:         16
        .size:           8
        .value_kind:     global_buffer
      - .actual_access:  read_only
        .address_space:  global
        .offset:         24
        .size:           8
        .value_kind:     global_buffer
      - .actual_access:  read_only
        .address_space:  global
        .offset:         32
        .size:           8
        .value_kind:     global_buffer
      - .offset:         40
        .size:           8
        .value_kind:     by_value
      - .address_space:  global
        .offset:         48
        .size:           8
        .value_kind:     global_buffer
      - .address_space:  global
        .offset:         56
        .size:           8
        .value_kind:     global_buffer
      - .address_space:  global
        .offset:         64
        .size:           8
        .value_kind:     global_buffer
      - .address_space:  global
        .offset:         72
        .size:           8
        .value_kind:     global_buffer
      - .offset:         80
        .size:           4
        .value_kind:     by_value
      - .address_space:  global
        .offset:         88
        .size:           8
        .value_kind:     global_buffer
      - .address_space:  global
        .offset:         96
        .size:           8
        .value_kind:     global_buffer
    .group_segment_fixed_size: 28080
    .kernarg_segment_align: 8
    .kernarg_segment_size: 104
    .language:       OpenCL C
    .language_version:
      - 2
      - 0
    .max_flat_workgroup_size: 195
    .name:           bluestein_single_fwd_len585_dim1_dp_op_CI_CI
    .private_segment_fixed_size: 0
    .sgpr_count:     50
    .sgpr_spill_count: 0
    .symbol:         bluestein_single_fwd_len585_dim1_dp_op_CI_CI.kd
    .uniform_work_group_size: 1
    .uses_dynamic_stack: false
    .vgpr_count:     247
    .vgpr_spill_count: 0
    .wavefront_size: 32
    .workgroup_processor_mode: 1
amdhsa.target:   amdgcn-amd-amdhsa--gfx1030
amdhsa.version:
  - 1
  - 2
...

	.end_amdgpu_metadata
